;; amdgpu-corpus repo=zjin-lcf/HeCBench kind=compiled arch=gfx1250 opt=O3
	.amdgcn_target "amdgcn-amd-amdhsa--gfx1250"
	.amdhsa_code_object_version 6
	.text
	.protected	_Z11init_facexyiiiiiiiiPd ; -- Begin function _Z11init_facexyiiiiiiiiPd
	.globl	_Z11init_facexyiiiiiiiiPd
	.p2align	8
	.type	_Z11init_facexyiiiiiiiiPd,@function
_Z11init_facexyiiiiiiiiPd:              ; @_Z11init_facexyiiiiiiiiPd
; %bb.0:
	s_clause 0x1
	s_load_b32 s4, s[0:1], 0x34
	s_load_b64 s[8:9], s[0:1], 0x10
	s_bfe_u32 s2, ttmp6, 0x4000c
	s_and_b32 s3, ttmp6, 15
	s_add_co_i32 s5, s2, 1
	s_getreg_b32 s2, hwreg(HW_REG_IB_STS2, 6, 4)
	s_mul_i32 s5, ttmp9, s5
	v_and_b32_e32 v1, 0x3ff, v0
	s_add_co_i32 s3, s3, s5
	s_mov_b32 s5, exec_lo
	s_wait_kmcnt 0x0
	s_and_b32 s6, s4, 0xffff
	s_cmp_eq_u32 s2, 0
	s_cselect_b32 s3, ttmp9, s3
	s_delay_alu instid0(SALU_CYCLE_1) | instskip(NEXT) | instid1(SALU_CYCLE_1)
	s_mul_i32 s3, s3, s6
	v_add_nc_u32_e32 v2, s3, v1
	s_delay_alu instid0(VALU_DEP_1)
	v_cmpx_gt_i32_e64 s8, v2
	s_cbranch_execz .LBB0_13
; %bb.1:
	s_load_b32 s5, s[0:1], 0x38
	s_lshr_b32 s10, s4, 16
	s_bfe_u32 s4, ttmp6, 0x40014
	s_lshr_b32 s11, ttmp7, 16
	s_bfe_u32 s7, ttmp6, 0x40010
	s_add_co_i32 s4, s4, 1
	s_bfe_u32 s6, ttmp6, 0x40008
	s_and_b32 s12, ttmp7, 0xffff
	s_add_co_i32 s7, s7, 1
	s_mul_i32 s4, s11, s4
	s_bfe_u32 s13, ttmp6, 0x40004
	s_mul_i32 s7, s12, s7
	s_add_co_i32 s14, s6, s4
	v_bfe_u32 v3, v0, 10, 10
	v_bfe_u32 v0, v0, 20, 10
	s_add_co_i32 s13, s13, s7
	s_wait_kmcnt 0x0
	s_and_b32 s4, s5, 0xffff
	s_delay_alu instid0(SALU_CYCLE_1)
	s_and_b32 s15, s4, 0xffff
	s_cmp_eq_u32 s2, 0
	s_load_b128 s[4:7], s[0:1], 0x0
	s_cselect_b32 s2, s12, s13
	s_cselect_b32 s11, s11, s14
	v_mad_u32 v3, s2, s10, v3
	v_mad_u32 v0, s11, s15, v0
	s_delay_alu instid0(VALU_DEP_2) | instskip(NEXT) | instid1(VALU_DEP_2)
	v_cmp_gt_i32_e32 vcc_lo, s9, v3
	v_cmp_gt_i32_e64 s2, 8, v0
	s_and_b32 s2, vcc_lo, s2
	s_wait_kmcnt 0x0
	s_cmp_gt_i32 s6, 0
	s_cselect_b32 s10, -1, 0
	s_delay_alu instid0(SALU_CYCLE_1) | instskip(NEXT) | instid1(SALU_CYCLE_1)
	s_and_b32 s2, s2, s10
	s_and_b32 exec_lo, exec_lo, s2
	s_cbranch_execz .LBB0_13
; %bb.2:
	s_load_b32 s2, s[0:1], 0x1c
	v_dual_add_nc_u32 v2, s4, v2 :: v_dual_bitop2_b32 v4, 4, v0 bitop3:0x40
	v_mad_u32 v5, v0, s9, v3
	s_wait_xcnt 0x0
	s_load_b64 s[0:1], s[0:1], 0x20
	s_cmp_gt_i32 s7, 0
	v_cmp_ne_u32_e32 vcc_lo, 0, v4
	s_wait_kmcnt 0x0
	v_cndmask_b32_e64 v4, 3, s2, vcc_lo
	s_mul_i32 s2, s7, s6
	s_delay_alu instid0(VALU_DEP_1) | instskip(NEXT) | instid1(VALU_DEP_4)
	v_add3_u32 v3, v3, s5, v4
	v_mul_lo_u32 v4, s8, v5
	s_delay_alu instid0(VALU_DEP_1) | instskip(SKIP_1) | instid1(VALU_DEP_1)
	v_add3_u32 v4, v1, v4, s3
	s_mov_b32 s3, 0
	v_mul_lo_u32 v5, s6, v4
	v_sub_nc_u32_e32 v2, v2, v3
	v_mul_lo_u32 v7, s2, v4
	s_cselect_b32 s2, -1, 0
	s_lshl_b32 s4, s7, 2
	s_delay_alu instid0(VALU_DEP_3) | instskip(SKIP_1) | instid1(VALU_DEP_2)
	v_lshlrev_b32_e32 v5, 2, v5
	v_bitop3_b32 v2, v2, 2, 3 bitop3:0x6c
	v_dual_lshlrev_b32 v10, 2, v7 :: v_dual_bitop2_b32 v8, 3, v5 bitop3:0x54
	s_delay_alu instid0(VALU_DEP_2) | instskip(SKIP_2) | instid1(VALU_DEP_4)
	v_lshlrev_b32_e64 v1, v2, 1
	v_dual_add_nc_u32 v2, 1, v0 :: v_dual_bitop2_b32 v6, 2, v5 bitop3:0x54
	v_mad_u32 v4, s7, v5, s7
	v_mul_lo_u32 v8, s7, v8
	s_delay_alu instid0(VALU_DEP_4) | instskip(NEXT) | instid1(VALU_DEP_4)
	v_cvt_f64_u32_e32 v[0:1], v1
	v_cvt_f64_i32_e32 v[2:3], v2
	v_mul_lo_u32 v6, s7, v6
	s_branch .LBB0_4
.LBB0_3:                                ;   in Loop: Header=BB0_4 Depth=1
	v_dual_add_nc_u32 v10, s4, v10 :: v_dual_add_nc_u32 v4, s4, v4
	s_delay_alu instid0(VALU_DEP_2) | instskip(SKIP_1) | instid1(SALU_CYCLE_1)
	v_dual_add_nc_u32 v6, s4, v6 :: v_dual_add_nc_u32 v8, s4, v8
	s_add_co_i32 s3, s3, 1
	s_cmp_eq_u32 s3, s6
	s_cbranch_scc1 .LBB0_13
.LBB0_4:                                ; =>This Loop Header: Depth=1
                                        ;     Child Loop BB0_6 Depth 2
                                        ;     Child Loop BB0_8 Depth 2
	;; [unrolled: 1-line block ×4, first 2 shown]
	s_and_not1_b32 vcc_lo, exec_lo, s2
	s_cbranch_vccnz .LBB0_3
; %bb.5:                                ;   in Loop: Header=BB0_4 Depth=1
	s_mul_i32 s5, s3, 0x556
	v_ashrrev_i32_e32 v11, 31, v10
	s_add_co_i32 s5, s5, 0x24d69
	s_delay_alu instid0(SALU_CYCLE_1) | instskip(NEXT) | instid1(VALU_DEP_1)
	s_mul_hi_u32 s8, s5, 0x77f2655b
	v_lshl_add_u64 v[14:15], v[10:11], 3, s[0:1]
	s_sub_co_i32 s9, s5, s8
	s_delay_alu instid0(SALU_CYCLE_1) | instskip(NEXT) | instid1(SALU_CYCLE_1)
	s_lshr_b32 s9, s9, 1
	s_add_co_i32 s9, s9, s8
	s_delay_alu instid0(SALU_CYCLE_1) | instskip(NEXT) | instid1(SALU_CYCLE_1)
	s_lshr_b32 s8, s9, 19
	s_mul_i32 s8, s8, 0xae529
	s_delay_alu instid0(SALU_CYCLE_1) | instskip(NEXT) | instid1(SALU_CYCLE_1)
	s_sub_co_i32 s5, s5, s8
	s_and_b32 s5, s5, 3
	s_delay_alu instid0(SALU_CYCLE_1) | instskip(NEXT) | instid1(SALU_CYCLE_1)
	s_lshl_b32 s5, 1, s5
	v_cvt_f64_u32_e32 v[12:13], s5
	s_mov_b32 s5, 0
.LBB0_6:                                ;   Parent Loop BB0_4 Depth=1
                                        ; =>  This Inner Loop Header: Depth=2
	s_delay_alu instid0(SALU_CYCLE_1)
	s_and_b32 s8, s5, 7
	s_add_co_i32 s5, s5, 1
	s_lshl_b32 s8, 1, s8
	v_cvt_f64_u32_e32 v[16:17], s5
	v_cvt_f64_u32_e32 v[18:19], s8
	s_cmp_eq_u32 s7, s5
	s_delay_alu instid0(VALU_DEP_1) | instskip(NEXT) | instid1(VALU_DEP_1)
	v_mul_f64_e32 v[16:17], v[16:17], v[18:19]
	v_mul_f64_e32 v[16:17], v[16:17], v[0:1]
	s_delay_alu instid0(VALU_DEP_1) | instskip(NEXT) | instid1(VALU_DEP_1)
	v_mul_f64_e32 v[16:17], v[16:17], v[12:13]
	v_add_f64_e32 v[16:17], v[16:17], v[16:17]
	s_delay_alu instid0(VALU_DEP_1)
	v_mul_f64_e32 v[16:17], v[16:17], v[2:3]
	global_store_b64 v[14:15], v[16:17], off
	s_wait_xcnt 0x0
	v_add_nc_u64_e32 v[14:15], 8, v[14:15]
	s_cbranch_scc0 .LBB0_6
; %bb.7:                                ;   in Loop: Header=BB0_4 Depth=1
	v_ashrrev_i32_e32 v5, 31, v4
	s_mov_b32 s5, 0
	s_delay_alu instid0(VALU_DEP_1)
	v_lshl_add_u64 v[14:15], v[4:5], 3, s[0:1]
.LBB0_8:                                ;   Parent Loop BB0_4 Depth=1
                                        ; =>  This Inner Loop Header: Depth=2
	s_and_b32 s8, s5, 7
	s_add_co_i32 s5, s5, 1
	s_lshl_b32 s8, 1, s8
	v_cvt_f64_u32_e32 v[16:17], s5
	v_cvt_f64_u32_e32 v[18:19], s8
	s_cmp_lg_u32 s7, s5
	s_delay_alu instid0(VALU_DEP_1) | instskip(NEXT) | instid1(VALU_DEP_1)
	v_mul_f64_e32 v[16:17], v[16:17], v[18:19]
	v_mul_f64_e32 v[16:17], v[16:17], v[0:1]
	s_delay_alu instid0(VALU_DEP_1) | instskip(NEXT) | instid1(VALU_DEP_1)
	v_mul_f64_e32 v[16:17], v[16:17], v[12:13]
	v_mul_f64_e32 v[16:17], 4.0, v[16:17]
	s_delay_alu instid0(VALU_DEP_1)
	v_mul_f64_e32 v[16:17], v[16:17], v[2:3]
	global_store_b64 v[14:15], v[16:17], off
	s_wait_xcnt 0x0
	v_add_nc_u64_e32 v[14:15], 8, v[14:15]
	s_cbranch_scc1 .LBB0_8
; %bb.9:                                ;   in Loop: Header=BB0_4 Depth=1
	v_ashrrev_i32_e32 v7, 31, v6
	s_mov_b32 s5, 0
	s_delay_alu instid0(VALU_DEP_1)
	v_lshl_add_u64 v[14:15], v[6:7], 3, s[0:1]
.LBB0_10:                               ;   Parent Loop BB0_4 Depth=1
                                        ; =>  This Inner Loop Header: Depth=2
	s_and_b32 s8, s5, 7
	s_add_co_i32 s5, s5, 1
	s_lshl_b32 s8, 1, s8
	v_cvt_f64_u32_e32 v[16:17], s5
	v_cvt_f64_u32_e32 v[18:19], s8
	s_cmp_lg_u32 s7, s5
	s_delay_alu instid0(VALU_DEP_1) | instskip(NEXT) | instid1(VALU_DEP_1)
	v_mul_f64_e32 v[16:17], v[16:17], v[18:19]
	v_mul_f64_e32 v[16:17], v[16:17], v[0:1]
	s_delay_alu instid0(VALU_DEP_1) | instskip(NEXT) | instid1(VALU_DEP_1)
	v_mul_f64_e32 v[16:17], v[16:17], v[12:13]
	v_ldexp_f64 v[16:17], v[16:17], 3
	s_delay_alu instid0(VALU_DEP_1)
	v_mul_f64_e32 v[16:17], v[16:17], v[2:3]
	global_store_b64 v[14:15], v[16:17], off
	s_wait_xcnt 0x0
	v_add_nc_u64_e32 v[14:15], 8, v[14:15]
	s_cbranch_scc1 .LBB0_10
; %bb.11:                               ;   in Loop: Header=BB0_4 Depth=1
	v_ashrrev_i32_e32 v9, 31, v8
	s_mov_b32 s5, 0
	s_delay_alu instid0(VALU_DEP_1)
	v_lshl_add_u64 v[14:15], v[8:9], 3, s[0:1]
.LBB0_12:                               ;   Parent Loop BB0_4 Depth=1
                                        ; =>  This Inner Loop Header: Depth=2
	s_and_b32 s8, s5, 7
	s_add_co_i32 s5, s5, 1
	s_lshl_b32 s8, 1, s8
	v_cvt_f64_u32_e32 v[16:17], s5
	v_cvt_f64_u32_e32 v[18:19], s8
	s_cmp_lg_u32 s7, s5
	s_delay_alu instid0(VALU_DEP_1) | instskip(NEXT) | instid1(VALU_DEP_1)
	v_mul_f64_e32 v[16:17], v[16:17], v[18:19]
	v_mul_f64_e32 v[16:17], v[16:17], v[0:1]
	s_delay_alu instid0(VALU_DEP_1) | instskip(NEXT) | instid1(VALU_DEP_1)
	v_mul_f64_e32 v[16:17], v[16:17], v[12:13]
	v_mul_f64_e32 v[16:17], v[16:17], v[2:3]
	global_store_b64 v[14:15], v[16:17], off
	s_wait_xcnt 0x0
	v_add_nc_u64_e32 v[14:15], 8, v[14:15]
	s_cbranch_scc1 .LBB0_12
	s_branch .LBB0_3
.LBB0_13:
	s_endpgm
	.section	.rodata,"a",@progbits
	.p2align	6, 0x0
	.amdhsa_kernel _Z11init_facexyiiiiiiiiPd
		.amdhsa_group_segment_fixed_size 0
		.amdhsa_private_segment_fixed_size 0
		.amdhsa_kernarg_size 296
		.amdhsa_user_sgpr_count 2
		.amdhsa_user_sgpr_dispatch_ptr 0
		.amdhsa_user_sgpr_queue_ptr 0
		.amdhsa_user_sgpr_kernarg_segment_ptr 1
		.amdhsa_user_sgpr_dispatch_id 0
		.amdhsa_user_sgpr_kernarg_preload_length 0
		.amdhsa_user_sgpr_kernarg_preload_offset 0
		.amdhsa_user_sgpr_private_segment_size 0
		.amdhsa_wavefront_size32 1
		.amdhsa_uses_dynamic_stack 0
		.amdhsa_enable_private_segment 0
		.amdhsa_system_sgpr_workgroup_id_x 1
		.amdhsa_system_sgpr_workgroup_id_y 1
		.amdhsa_system_sgpr_workgroup_id_z 1
		.amdhsa_system_sgpr_workgroup_info 0
		.amdhsa_system_vgpr_workitem_id 2
		.amdhsa_next_free_vgpr 20
		.amdhsa_next_free_sgpr 16
		.amdhsa_named_barrier_count 0
		.amdhsa_reserve_vcc 1
		.amdhsa_float_round_mode_32 0
		.amdhsa_float_round_mode_16_64 0
		.amdhsa_float_denorm_mode_32 3
		.amdhsa_float_denorm_mode_16_64 3
		.amdhsa_fp16_overflow 0
		.amdhsa_memory_ordered 1
		.amdhsa_forward_progress 1
		.amdhsa_inst_pref_size 9
		.amdhsa_round_robin_scheduling 0
		.amdhsa_exception_fp_ieee_invalid_op 0
		.amdhsa_exception_fp_denorm_src 0
		.amdhsa_exception_fp_ieee_div_zero 0
		.amdhsa_exception_fp_ieee_overflow 0
		.amdhsa_exception_fp_ieee_underflow 0
		.amdhsa_exception_fp_ieee_inexact 0
		.amdhsa_exception_int_div_zero 0
	.end_amdhsa_kernel
	.text
.Lfunc_end0:
	.size	_Z11init_facexyiiiiiiiiPd, .Lfunc_end0-_Z11init_facexyiiiiiiiiPd
                                        ; -- End function
	.set _Z11init_facexyiiiiiiiiPd.num_vgpr, 20
	.set _Z11init_facexyiiiiiiiiPd.num_agpr, 0
	.set _Z11init_facexyiiiiiiiiPd.numbered_sgpr, 16
	.set _Z11init_facexyiiiiiiiiPd.num_named_barrier, 0
	.set _Z11init_facexyiiiiiiiiPd.private_seg_size, 0
	.set _Z11init_facexyiiiiiiiiPd.uses_vcc, 1
	.set _Z11init_facexyiiiiiiiiPd.uses_flat_scratch, 0
	.set _Z11init_facexyiiiiiiiiPd.has_dyn_sized_stack, 0
	.set _Z11init_facexyiiiiiiiiPd.has_recursion, 0
	.set _Z11init_facexyiiiiiiiiPd.has_indirect_call, 0
	.section	.AMDGPU.csdata,"",@progbits
; Kernel info:
; codeLenInByte = 1068
; TotalNumSgprs: 18
; NumVgprs: 20
; ScratchSize: 0
; MemoryBound: 0
; FloatMode: 240
; IeeeMode: 1
; LDSByteSize: 0 bytes/workgroup (compile time only)
; SGPRBlocks: 0
; VGPRBlocks: 1
; NumSGPRsForWavesPerEU: 18
; NumVGPRsForWavesPerEU: 20
; NamedBarCnt: 0
; Occupancy: 16
; WaveLimiterHint : 0
; COMPUTE_PGM_RSRC2:SCRATCH_EN: 0
; COMPUTE_PGM_RSRC2:USER_SGPR: 2
; COMPUTE_PGM_RSRC2:TRAP_HANDLER: 0
; COMPUTE_PGM_RSRC2:TGID_X_EN: 1
; COMPUTE_PGM_RSRC2:TGID_Y_EN: 1
; COMPUTE_PGM_RSRC2:TGID_Z_EN: 1
; COMPUTE_PGM_RSRC2:TIDIG_COMP_CNT: 2
	.text
	.protected	_Z11init_facexziiiiiiiii11StepInfoAllPd ; -- Begin function _Z11init_facexziiiiiiiii11StepInfoAllPd
	.globl	_Z11init_facexziiiiiiiii11StepInfoAllPd
	.p2align	8
	.type	_Z11init_facexziiiiiiiii11StepInfoAllPd,@function
_Z11init_facexziiiiiiiii11StepInfoAllPd: ; @_Z11init_facexziiiiiiiii11StepInfoAllPd
; %bb.0:
	s_clause 0x1
	s_load_b32 s12, s[0:1], 0x9c
	s_load_b256 s[4:11], s[0:1], 0x0
	s_bfe_u32 s2, ttmp6, 0x4000c
	s_and_b32 s3, ttmp6, 15
	s_add_co_i32 s13, s2, 1
	s_getreg_b32 s2, hwreg(HW_REG_IB_STS2, 6, 4)
	s_mul_i32 s13, ttmp9, s13
	v_and_b32_e32 v1, 0x3ff, v0
	s_add_co_i32 s3, s3, s13
	s_mov_b32 s13, exec_lo
	s_wait_kmcnt 0x0
	s_and_b32 s14, s12, 0xffff
	s_cmp_eq_u32 s2, 0
	s_cselect_b32 s3, ttmp9, s3
	s_delay_alu instid0(SALU_CYCLE_1) | instskip(NEXT) | instid1(SALU_CYCLE_1)
	s_mul_i32 s3, s3, s14
	v_add_nc_u32_e32 v2, s3, v1
	s_delay_alu instid0(VALU_DEP_1)
	v_cmpx_gt_i32_e64 s8, v2
	s_cbranch_execz .LBB1_21
; %bb.1:
	s_load_b32 s13, s[0:1], 0xa0
	s_bfe_u32 s15, ttmp6, 0x40014
	s_bfe_u32 s18, ttmp6, 0x40010
	s_lshr_b32 s14, ttmp7, 16
	s_and_b32 s17, ttmp7, 0xffff
	s_add_co_i32 s15, s15, 1
	s_add_co_i32 s18, s18, 1
	s_bfe_u32 s16, ttmp6, 0x40008
	s_bfe_u32 s19, ttmp6, 0x40004
	s_mul_i32 s15, s14, s15
	s_mul_i32 s18, s17, s18
	s_lshr_b32 s12, s12, 16
	v_bfe_u32 v3, v0, 10, 10
	v_bfe_u32 v0, v0, 20, 10
	s_add_co_i32 s16, s16, s15
	s_add_co_i32 s19, s19, s18
	s_wait_kmcnt 0x0
	s_and_b32 s13, s13, 0xffff
	s_delay_alu instid0(SALU_CYCLE_1)
	s_and_b32 s13, s13, 0xffff
	s_cmp_eq_u32 s2, 0
	s_cselect_b32 s2, s17, s19
	s_cselect_b32 s14, s14, s16
	v_mad_u32 v4, s2, s12, v3
	v_mad_u32 v3, s14, s13, v0
	s_load_b32 s12, s[0:1], 0x20
	s_delay_alu instid0(VALU_DEP_2) | instskip(NEXT) | instid1(VALU_DEP_2)
	v_cmp_gt_i32_e32 vcc_lo, s10, v4
	v_cmp_gt_i32_e64 s2, 8, v3
	s_and_b32 s2, vcc_lo, s2
	s_cmp_gt_i32 s6, 0
	s_cselect_b32 s13, -1, 0
	s_delay_alu instid0(SALU_CYCLE_1) | instskip(NEXT) | instid1(SALU_CYCLE_1)
	s_and_b32 s2, s2, s13
	s_and_b32 exec_lo, exec_lo, s2
	s_cbranch_execz .LBB1_21
; %bb.2:
	v_mad_u32 v0, v3, s10, v4
	v_add_nc_u32_e32 v8, s4, v2
	s_mul_i32 s4, s7, s6
	s_cmp_gt_i32 s7, 0
	v_and_b32_e32 v7, 2, v3
	s_delay_alu instid0(VALU_DEP_1) | instskip(NEXT) | instid1(VALU_DEP_4)
	v_cmp_eq_u32_e32 vcc_lo, 0, v7
	v_mul_lo_u32 v0, s8, v0
	v_cndmask_b32_e64 v12, s9, 3, vcc_lo
	s_delay_alu instid0(VALU_DEP_1) | instskip(NEXT) | instid1(VALU_DEP_3)
	v_add3_u32 v12, v4, s5, v12
	v_add3_u32 v5, v1, v0, s3
	v_add_nc_u32_e32 v0, 1, v3
	s_load_b64 s[2:3], s[0:1], 0x88
	v_mad_nc_i64_i32 v[2:3], v3, 12, s[0:1]
	s_wait_xcnt 0x0
	v_cmp_ne_u32_e64 s0, 0, v7
	v_mul_lo_u32 v6, s6, v5
	v_cvt_f64_i32_e32 v[0:1], v0
	v_mul_lo_u32 v5, s4, v5
	s_cselect_b32 s1, -1, 0
	s_cmp_lg_u32 s11, 0
	s_cselect_b32 s8, -1, 0
	s_delay_alu instid0(SALU_CYCLE_1) | instskip(SKIP_3) | instid1(VALU_DEP_4)
	s_and_b32 s4, s8, vcc_lo
	s_wait_kmcnt 0x0
	s_cmp_lg_u32 s12, 0
	v_add_nc_u64_e32 v[2:3], 36, v[2:3]
	v_lshlrev_b32_e32 v6, 2, v6
	s_cselect_b32 s8, -1, 0
	s_delay_alu instid0(VALU_DEP_3)
	v_lshlrev_b32_e32 v13, 2, v5
	s_and_b32 s8, s8, s0
	s_mov_b32 s0, 0
	v_or_b32_e32 v7, 2, v6
	v_or_b32_e32 v11, 3, v6
	v_mad_u32 v9, s7, v6, s7
	s_or_b32 s4, s4, s8
	s_lshl_b32 s5, s7, 2
	v_mul_lo_u32 v10, s7, v7
	v_mul_lo_u32 v11, s7, v11
	s_branch .LBB1_4
.LBB1_3:                                ;   in Loop: Header=BB1_4 Depth=1
	s_delay_alu instid0(VALU_DEP_2) | instskip(NEXT) | instid1(VALU_DEP_2)
	v_dual_add_nc_u32 v13, s5, v13 :: v_dual_add_nc_u32 v10, s5, v10
	v_dual_add_nc_u32 v9, s5, v9 :: v_dual_add_nc_u32 v11, s5, v11
	s_add_co_i32 s0, s0, 1
	s_delay_alu instid0(SALU_CYCLE_1)
	s_cmp_eq_u32 s0, s6
	s_cbranch_scc1 .LBB1_21
.LBB1_4:                                ; =>This Loop Header: Depth=1
                                        ;     Child Loop BB1_7 Depth 2
                                        ;     Child Loop BB1_11 Depth 2
	;; [unrolled: 1-line block ×4, first 2 shown]
	s_and_not1_b32 vcc_lo, exec_lo, s1
	s_cbranch_vccnz .LBB1_3
; %bb.5:                                ;   in Loop: Header=BB1_4 Depth=1
	global_load_b32 v4, v[2:3], off
	s_mul_i32 s8, s0, 0x556
	s_delay_alu instid0(SALU_CYCLE_1) | instskip(NEXT) | instid1(SALU_CYCLE_1)
	s_add_co_i32 s8, s8, 0x24d69
	s_mul_hi_u32 s9, s8, 0x77f2655b
	s_delay_alu instid0(SALU_CYCLE_1) | instskip(NEXT) | instid1(SALU_CYCLE_1)
	s_sub_co_i32 s11, s8, s9
	s_lshr_b32 s11, s11, 1
	s_delay_alu instid0(SALU_CYCLE_1) | instskip(NEXT) | instid1(SALU_CYCLE_1)
	s_add_co_i32 s11, s11, s9
	s_lshr_b32 s9, s11, 19
	s_delay_alu instid0(SALU_CYCLE_1) | instskip(NEXT) | instid1(SALU_CYCLE_1)
	s_mul_i32 s9, s9, 0xae529
	s_sub_co_i32 s8, s8, s9
	s_delay_alu instid0(SALU_CYCLE_1) | instskip(NEXT) | instid1(SALU_CYCLE_1)
	s_and_b32 s8, s8, 3
	s_lshl_b32 s8, 1, s8
	s_wait_loadcnt 0x0
	v_mad_u32 v4, v4, s10, v12
	s_delay_alu instid0(VALU_DEP_1) | instskip(NEXT) | instid1(VALU_DEP_1)
	v_sub_nc_u32_e32 v4, v8, v4
	v_bitop3_b32 v4, v4, 2, 3 bitop3:0x6c
	s_delay_alu instid0(VALU_DEP_1) | instskip(SKIP_2) | instid1(VALU_DEP_2)
	v_lshlrev_b32_e64 v6, v4, 1
	v_cvt_f64_u32_e32 v[4:5], s8
	s_mov_b32 s8, 0
	v_cvt_f64_u32_e32 v[6:7], v6
	s_branch .LBB1_7
.LBB1_6:                                ;   in Loop: Header=BB1_7 Depth=2
	s_wait_xcnt 0x0
	s_or_b32 exec_lo, exec_lo, s11
	s_cmp_eq_u32 s7, s9
	s_mov_b32 s8, s9
	s_cbranch_scc1 .LBB1_9
.LBB1_7:                                ;   Parent Loop BB1_4 Depth=1
                                        ; =>  This Inner Loop Header: Depth=2
	s_add_co_i32 s9, s8, 1
	s_wait_xcnt 0x0
	s_and_saveexec_b32 s11, s4
	s_cbranch_execz .LBB1_6
; %bb.8:                                ;   in Loop: Header=BB1_7 Depth=2
	s_and_b32 s12, s8, 7
	v_cvt_f64_u32_e32 v[14:15], s9
	s_lshl_b32 s12, 1, s12
	s_delay_alu instid0(SALU_CYCLE_1) | instskip(NEXT) | instid1(VALU_DEP_1)
	v_cvt_f64_u32_e32 v[16:17], s12
	v_mul_f64_e32 v[14:15], v[14:15], v[16:17]
	s_delay_alu instid0(VALU_DEP_1) | instskip(NEXT) | instid1(VALU_DEP_1)
	v_dual_mul_f64 v[14:15], v[14:15], v[6:7] :: v_dual_add_nc_u32 v16, s8, v13
	v_mul_f64_e32 v[14:15], v[14:15], v[4:5]
	s_delay_alu instid0(VALU_DEP_1) | instskip(NEXT) | instid1(VALU_DEP_1)
	v_add_f64_e32 v[14:15], v[14:15], v[14:15]
	v_mul_f64_e32 v[14:15], v[14:15], v[0:1]
	global_store_b64 v16, v[14:15], s[2:3] scale_offset
	s_branch .LBB1_6
.LBB1_9:                                ;   in Loop: Header=BB1_4 Depth=1
	s_mov_b32 s8, 0
	s_branch .LBB1_11
.LBB1_10:                               ;   in Loop: Header=BB1_11 Depth=2
	s_wait_xcnt 0x0
	s_or_b32 exec_lo, exec_lo, s11
	s_cmp_lg_u32 s7, s9
	s_mov_b32 s8, s9
	s_cbranch_scc0 .LBB1_13
.LBB1_11:                               ;   Parent Loop BB1_4 Depth=1
                                        ; =>  This Inner Loop Header: Depth=2
	s_add_co_i32 s9, s8, 1
	s_and_saveexec_b32 s11, s4
	s_cbranch_execz .LBB1_10
; %bb.12:                               ;   in Loop: Header=BB1_11 Depth=2
	s_and_b32 s12, s8, 7
	v_cvt_f64_u32_e32 v[14:15], s9
	s_lshl_b32 s12, 1, s12
	s_delay_alu instid0(SALU_CYCLE_1) | instskip(NEXT) | instid1(VALU_DEP_1)
	v_cvt_f64_u32_e32 v[16:17], s12
	v_mul_f64_e32 v[14:15], v[14:15], v[16:17]
	s_delay_alu instid0(VALU_DEP_1) | instskip(NEXT) | instid1(VALU_DEP_1)
	v_dual_mul_f64 v[14:15], v[14:15], v[6:7] :: v_dual_add_nc_u32 v16, s8, v9
	v_mul_f64_e32 v[14:15], v[14:15], v[4:5]
	s_delay_alu instid0(VALU_DEP_1) | instskip(NEXT) | instid1(VALU_DEP_1)
	v_mul_f64_e32 v[14:15], 4.0, v[14:15]
	v_mul_f64_e32 v[14:15], v[14:15], v[0:1]
	global_store_b64 v16, v[14:15], s[2:3] scale_offset
	s_branch .LBB1_10
.LBB1_13:                               ;   in Loop: Header=BB1_4 Depth=1
	s_mov_b32 s8, 0
	s_branch .LBB1_15
.LBB1_14:                               ;   in Loop: Header=BB1_15 Depth=2
	s_wait_xcnt 0x0
	s_or_b32 exec_lo, exec_lo, s11
	s_cmp_lg_u32 s7, s9
	s_mov_b32 s8, s9
	s_cbranch_scc0 .LBB1_17
.LBB1_15:                               ;   Parent Loop BB1_4 Depth=1
                                        ; =>  This Inner Loop Header: Depth=2
	s_add_co_i32 s9, s8, 1
	s_and_saveexec_b32 s11, s4
	s_cbranch_execz .LBB1_14
; %bb.16:                               ;   in Loop: Header=BB1_15 Depth=2
	s_and_b32 s12, s8, 7
	v_cvt_f64_u32_e32 v[14:15], s9
	s_lshl_b32 s12, 1, s12
	s_delay_alu instid0(SALU_CYCLE_1) | instskip(NEXT) | instid1(VALU_DEP_1)
	v_cvt_f64_u32_e32 v[16:17], s12
	v_dual_mul_f64 v[14:15], v[14:15], v[16:17] :: v_dual_add_nc_u32 v16, s8, v10
	s_delay_alu instid0(VALU_DEP_1) | instskip(NEXT) | instid1(VALU_DEP_1)
	v_mul_f64_e32 v[14:15], v[14:15], v[6:7]
	v_mul_f64_e32 v[14:15], v[14:15], v[4:5]
	s_delay_alu instid0(VALU_DEP_1) | instskip(NEXT) | instid1(VALU_DEP_1)
	v_ldexp_f64 v[14:15], v[14:15], 3
	v_mul_f64_e32 v[14:15], v[14:15], v[0:1]
	global_store_b64 v16, v[14:15], s[2:3] scale_offset
	s_branch .LBB1_14
.LBB1_17:                               ;   in Loop: Header=BB1_4 Depth=1
	s_mov_b32 s8, 0
	s_branch .LBB1_19
.LBB1_18:                               ;   in Loop: Header=BB1_19 Depth=2
	s_wait_xcnt 0x0
	s_or_b32 exec_lo, exec_lo, s11
	s_cmp_lg_u32 s7, s9
	s_mov_b32 s8, s9
	s_cbranch_scc0 .LBB1_3
.LBB1_19:                               ;   Parent Loop BB1_4 Depth=1
                                        ; =>  This Inner Loop Header: Depth=2
	s_add_co_i32 s9, s8, 1
	s_and_saveexec_b32 s11, s4
	s_cbranch_execz .LBB1_18
; %bb.20:                               ;   in Loop: Header=BB1_19 Depth=2
	s_and_b32 s12, s8, 7
	v_cvt_f64_u32_e32 v[14:15], s9
	s_lshl_b32 s12, 1, s12
	s_delay_alu instid0(SALU_CYCLE_1) | instskip(NEXT) | instid1(VALU_DEP_1)
	v_cvt_f64_u32_e32 v[16:17], s12
	v_dual_mul_f64 v[14:15], v[14:15], v[16:17] :: v_dual_add_nc_u32 v16, s8, v11
	s_delay_alu instid0(VALU_DEP_1) | instskip(NEXT) | instid1(VALU_DEP_1)
	v_mul_f64_e32 v[14:15], v[14:15], v[6:7]
	v_mul_f64_e32 v[14:15], v[14:15], v[4:5]
	s_delay_alu instid0(VALU_DEP_1)
	v_mul_f64_e32 v[14:15], v[14:15], v[0:1]
	global_store_b64 v16, v[14:15], s[2:3] scale_offset
	s_branch .LBB1_18
.LBB1_21:
	s_endpgm
	.section	.rodata,"a",@progbits
	.p2align	6, 0x0
	.amdhsa_kernel _Z11init_facexziiiiiiiii11StepInfoAllPd
		.amdhsa_group_segment_fixed_size 0
		.amdhsa_private_segment_fixed_size 0
		.amdhsa_kernarg_size 400
		.amdhsa_user_sgpr_count 2
		.amdhsa_user_sgpr_dispatch_ptr 0
		.amdhsa_user_sgpr_queue_ptr 0
		.amdhsa_user_sgpr_kernarg_segment_ptr 1
		.amdhsa_user_sgpr_dispatch_id 0
		.amdhsa_user_sgpr_kernarg_preload_length 0
		.amdhsa_user_sgpr_kernarg_preload_offset 0
		.amdhsa_user_sgpr_private_segment_size 0
		.amdhsa_wavefront_size32 1
		.amdhsa_uses_dynamic_stack 0
		.amdhsa_enable_private_segment 0
		.amdhsa_system_sgpr_workgroup_id_x 1
		.amdhsa_system_sgpr_workgroup_id_y 1
		.amdhsa_system_sgpr_workgroup_id_z 1
		.amdhsa_system_sgpr_workgroup_info 0
		.amdhsa_system_vgpr_workitem_id 2
		.amdhsa_next_free_vgpr 18
		.amdhsa_next_free_sgpr 20
		.amdhsa_named_barrier_count 0
		.amdhsa_reserve_vcc 1
		.amdhsa_float_round_mode_32 0
		.amdhsa_float_round_mode_16_64 0
		.amdhsa_float_denorm_mode_32 3
		.amdhsa_float_denorm_mode_16_64 3
		.amdhsa_fp16_overflow 0
		.amdhsa_memory_ordered 1
		.amdhsa_forward_progress 1
		.amdhsa_inst_pref_size 10
		.amdhsa_round_robin_scheduling 0
		.amdhsa_exception_fp_ieee_invalid_op 0
		.amdhsa_exception_fp_denorm_src 0
		.amdhsa_exception_fp_ieee_div_zero 0
		.amdhsa_exception_fp_ieee_overflow 0
		.amdhsa_exception_fp_ieee_underflow 0
		.amdhsa_exception_fp_ieee_inexact 0
		.amdhsa_exception_int_div_zero 0
	.end_amdhsa_kernel
	.text
.Lfunc_end1:
	.size	_Z11init_facexziiiiiiiii11StepInfoAllPd, .Lfunc_end1-_Z11init_facexziiiiiiiii11StepInfoAllPd
                                        ; -- End function
	.set _Z11init_facexziiiiiiiii11StepInfoAllPd.num_vgpr, 18
	.set _Z11init_facexziiiiiiiii11StepInfoAllPd.num_agpr, 0
	.set _Z11init_facexziiiiiiiii11StepInfoAllPd.numbered_sgpr, 20
	.set _Z11init_facexziiiiiiiii11StepInfoAllPd.num_named_barrier, 0
	.set _Z11init_facexziiiiiiiii11StepInfoAllPd.private_seg_size, 0
	.set _Z11init_facexziiiiiiiii11StepInfoAllPd.uses_vcc, 1
	.set _Z11init_facexziiiiiiiii11StepInfoAllPd.uses_flat_scratch, 0
	.set _Z11init_facexziiiiiiiii11StepInfoAllPd.has_dyn_sized_stack, 0
	.set _Z11init_facexziiiiiiiii11StepInfoAllPd.has_recursion, 0
	.set _Z11init_facexziiiiiiiii11StepInfoAllPd.has_indirect_call, 0
	.section	.AMDGPU.csdata,"",@progbits
; Kernel info:
; codeLenInByte = 1176
; TotalNumSgprs: 22
; NumVgprs: 18
; ScratchSize: 0
; MemoryBound: 0
; FloatMode: 240
; IeeeMode: 1
; LDSByteSize: 0 bytes/workgroup (compile time only)
; SGPRBlocks: 0
; VGPRBlocks: 1
; NumSGPRsForWavesPerEU: 22
; NumVGPRsForWavesPerEU: 18
; NamedBarCnt: 0
; Occupancy: 16
; WaveLimiterHint : 0
; COMPUTE_PGM_RSRC2:SCRATCH_EN: 0
; COMPUTE_PGM_RSRC2:USER_SGPR: 2
; COMPUTE_PGM_RSRC2:TRAP_HANDLER: 0
; COMPUTE_PGM_RSRC2:TGID_X_EN: 1
; COMPUTE_PGM_RSRC2:TGID_Y_EN: 1
; COMPUTE_PGM_RSRC2:TGID_Z_EN: 1
; COMPUTE_PGM_RSRC2:TIDIG_COMP_CNT: 2
	.text
	.protected	_Z11init_faceyziiiiiiiii11StepInfoAllPd ; -- Begin function _Z11init_faceyziiiiiiiii11StepInfoAllPd
	.globl	_Z11init_faceyziiiiiiiii11StepInfoAllPd
	.p2align	8
	.type	_Z11init_faceyziiiiiiiii11StepInfoAllPd,@function
_Z11init_faceyziiiiiiiii11StepInfoAllPd: ; @_Z11init_faceyziiiiiiiii11StepInfoAllPd
; %bb.0:
	s_clause 0x1
	s_load_b32 s12, s[0:1], 0x9c
	s_load_b256 s[4:11], s[0:1], 0x0
	s_bfe_u32 s2, ttmp6, 0x4000c
	s_and_b32 s3, ttmp6, 15
	s_add_co_i32 s13, s2, 1
	s_getreg_b32 s2, hwreg(HW_REG_IB_STS2, 6, 4)
	s_mul_i32 s13, ttmp9, s13
	v_and_b32_e32 v1, 0x3ff, v0
	s_add_co_i32 s3, s3, s13
	s_mov_b32 s13, exec_lo
	s_wait_kmcnt 0x0
	s_and_b32 s14, s12, 0xffff
	s_cmp_eq_u32 s2, 0
	s_cselect_b32 s3, ttmp9, s3
	s_delay_alu instid0(SALU_CYCLE_1) | instskip(NEXT) | instid1(SALU_CYCLE_1)
	s_mul_i32 s3, s3, s14
	v_add_nc_u32_e32 v4, s3, v1
	s_delay_alu instid0(VALU_DEP_1)
	v_cmpx_gt_i32_e64 s9, v4
	s_cbranch_execz .LBB2_21
; %bb.1:
	s_load_b32 s13, s[0:1], 0xa0
	s_bfe_u32 s15, ttmp6, 0x40014
	s_bfe_u32 s18, ttmp6, 0x40010
	s_lshr_b32 s14, ttmp7, 16
	s_and_b32 s17, ttmp7, 0xffff
	s_add_co_i32 s15, s15, 1
	s_add_co_i32 s18, s18, 1
	s_bfe_u32 s16, ttmp6, 0x40008
	s_bfe_u32 s19, ttmp6, 0x40004
	s_mul_i32 s15, s14, s15
	s_mul_i32 s18, s17, s18
	s_lshr_b32 s12, s12, 16
	v_bfe_u32 v2, v0, 10, 10
	v_bfe_u32 v0, v0, 20, 10
	s_add_co_i32 s16, s16, s15
	s_add_co_i32 s19, s19, s18
	s_wait_kmcnt 0x0
	s_and_b32 s13, s13, 0xffff
	s_delay_alu instid0(SALU_CYCLE_1)
	s_and_b32 s13, s13, 0xffff
	s_cmp_eq_u32 s2, 0
	s_cselect_b32 s2, s17, s19
	s_cselect_b32 s14, s14, s16
	v_mad_u32 v5, s2, s12, v2
	v_mad_u32 v2, s14, s13, v0
	s_load_b32 s12, s[0:1], 0x20
	s_delay_alu instid0(VALU_DEP_2) | instskip(NEXT) | instid1(VALU_DEP_2)
	v_cmp_gt_i32_e32 vcc_lo, s10, v5
	v_cmp_gt_i32_e64 s2, 8, v2
	s_and_b32 s2, vcc_lo, s2
	s_cmp_gt_i32 s6, 0
	s_cselect_b32 s13, -1, 0
	s_delay_alu instid0(SALU_CYCLE_1) | instskip(NEXT) | instid1(SALU_CYCLE_1)
	s_and_b32 s2, s2, s13
	s_and_b32 exec_lo, exec_lo, s2
	s_cbranch_execz .LBB2_21
; %bb.2:
	v_mad_u32 v0, v2, s10, v5
	s_cmp_gt_i32 s7, 0
	v_dual_mov_b32 v9, s11 :: v_dual_bitop2_b32 v8, 1, v2 bitop3:0x40
	s_delay_alu instid0(VALU_DEP_1) | instskip(NEXT) | instid1(VALU_DEP_3)
	v_cmp_eq_u32_e32 vcc_lo, 0, v8
	v_mul_lo_u32 v0, s9, v0
	v_cndmask_b32_e64 v8, s8, 3, vcc_lo
	s_wait_kmcnt 0x0
	v_cndmask_b32_e32 v12, s12, v9, vcc_lo
	s_delay_alu instid0(VALU_DEP_2) | instskip(SKIP_1) | instid1(VALU_DEP_4)
	v_add_nc_u32_e32 v8, s4, v8
	s_mov_b32 s4, 0
	v_add3_u32 v6, v1, v0, s3
	v_add_nc_u32_e32 v0, 1, v2
	s_load_b64 s[2:3], s[0:1], 0x88
	v_mad_nc_i64_i32 v[2:3], v2, 12, s[0:1]
	s_wait_xcnt 0x0
	s_mul_i32 s0, s7, s6
	v_mul_lo_u32 v7, s6, v6
	v_cvt_f64_i32_e32 v[0:1], v0
	v_mul_lo_u32 v6, s0, v6
	s_cselect_b32 s1, -1, 0
	v_cmp_ne_u32_e64 s0, 0, v12
	v_add3_u32 v12, v4, s5, v5
	s_lshl_b32 s5, s7, 2
	v_add_nc_u64_e32 v[2:3], 36, v[2:3]
	v_dual_lshlrev_b32 v7, 2, v7 :: v_dual_lshlrev_b32 v13, 2, v6
	s_delay_alu instid0(VALU_DEP_1) | instskip(SKIP_2) | instid1(VALU_DEP_3)
	v_or_b32_e32 v10, 2, v7
	v_or_b32_e32 v11, 3, v7
	v_mad_u32 v9, s7, v7, s7
	v_mul_lo_u32 v10, s7, v10
	s_delay_alu instid0(VALU_DEP_3)
	v_mul_lo_u32 v11, s7, v11
	s_branch .LBB2_4
.LBB2_3:                                ;   in Loop: Header=BB2_4 Depth=1
	s_delay_alu instid0(VALU_DEP_2) | instskip(NEXT) | instid1(VALU_DEP_2)
	v_dual_add_nc_u32 v13, s5, v13 :: v_dual_add_nc_u32 v10, s5, v10
	v_dual_add_nc_u32 v9, s5, v9 :: v_dual_add_nc_u32 v11, s5, v11
	s_add_co_i32 s4, s4, 1
	s_delay_alu instid0(SALU_CYCLE_1)
	s_cmp_eq_u32 s4, s6
	s_cbranch_scc1 .LBB2_21
.LBB2_4:                                ; =>This Loop Header: Depth=1
                                        ;     Child Loop BB2_7 Depth 2
                                        ;     Child Loop BB2_11 Depth 2
	;; [unrolled: 1-line block ×4, first 2 shown]
	s_and_not1_b32 vcc_lo, exec_lo, s1
	s_cbranch_vccnz .LBB2_3
; %bb.5:                                ;   in Loop: Header=BB2_4 Depth=1
	global_load_b32 v4, v[2:3], off
	s_mul_i32 s8, s4, 0x556
	s_delay_alu instid0(SALU_CYCLE_1) | instskip(NEXT) | instid1(SALU_CYCLE_1)
	s_add_co_i32 s8, s8, 0x24d69
	s_mul_hi_u32 s9, s8, 0x77f2655b
	s_delay_alu instid0(SALU_CYCLE_1) | instskip(NEXT) | instid1(SALU_CYCLE_1)
	s_sub_co_i32 s11, s8, s9
	s_lshr_b32 s11, s11, 1
	s_delay_alu instid0(SALU_CYCLE_1) | instskip(NEXT) | instid1(SALU_CYCLE_1)
	s_add_co_i32 s11, s11, s9
	s_lshr_b32 s9, s11, 19
	s_delay_alu instid0(SALU_CYCLE_1) | instskip(NEXT) | instid1(SALU_CYCLE_1)
	s_mul_i32 s9, s9, 0xae529
	s_sub_co_i32 s8, s8, s9
	s_delay_alu instid0(SALU_CYCLE_1) | instskip(NEXT) | instid1(SALU_CYCLE_1)
	s_and_b32 s8, s8, 3
	s_lshl_b32 s8, 1, s8
	s_wait_loadcnt 0x0
	v_mad_u32 v4, v4, s10, v12
	s_delay_alu instid0(VALU_DEP_1) | instskip(NEXT) | instid1(VALU_DEP_1)
	v_sub_nc_u32_e32 v4, v8, v4
	v_bitop3_b32 v4, v4, 2, 3 bitop3:0x6c
	s_delay_alu instid0(VALU_DEP_1) | instskip(SKIP_2) | instid1(VALU_DEP_2)
	v_lshlrev_b32_e64 v6, v4, 1
	v_cvt_f64_u32_e32 v[4:5], s8
	s_mov_b32 s8, 0
	v_cvt_f64_u32_e32 v[6:7], v6
	s_branch .LBB2_7
.LBB2_6:                                ;   in Loop: Header=BB2_7 Depth=2
	s_wait_xcnt 0x0
	s_or_b32 exec_lo, exec_lo, s11
	s_cmp_eq_u32 s7, s9
	s_mov_b32 s8, s9
	s_cbranch_scc1 .LBB2_9
.LBB2_7:                                ;   Parent Loop BB2_4 Depth=1
                                        ; =>  This Inner Loop Header: Depth=2
	s_add_co_i32 s9, s8, 1
	s_wait_xcnt 0x0
	s_and_saveexec_b32 s11, s0
	s_cbranch_execz .LBB2_6
; %bb.8:                                ;   in Loop: Header=BB2_7 Depth=2
	s_and_b32 s12, s8, 7
	v_cvt_f64_u32_e32 v[14:15], s9
	s_lshl_b32 s12, 1, s12
	s_delay_alu instid0(SALU_CYCLE_1) | instskip(NEXT) | instid1(VALU_DEP_1)
	v_cvt_f64_u32_e32 v[16:17], s12
	v_mul_f64_e32 v[14:15], v[14:15], v[16:17]
	s_delay_alu instid0(VALU_DEP_1) | instskip(NEXT) | instid1(VALU_DEP_1)
	v_dual_mul_f64 v[14:15], v[14:15], v[6:7] :: v_dual_add_nc_u32 v16, s8, v13
	v_mul_f64_e32 v[14:15], v[14:15], v[4:5]
	s_delay_alu instid0(VALU_DEP_1) | instskip(NEXT) | instid1(VALU_DEP_1)
	v_add_f64_e32 v[14:15], v[14:15], v[14:15]
	v_mul_f64_e32 v[14:15], v[14:15], v[0:1]
	s_wait_kmcnt 0x0
	global_store_b64 v16, v[14:15], s[2:3] scale_offset
	s_branch .LBB2_6
.LBB2_9:                                ;   in Loop: Header=BB2_4 Depth=1
	s_mov_b32 s8, 0
	s_branch .LBB2_11
.LBB2_10:                               ;   in Loop: Header=BB2_11 Depth=2
	s_wait_xcnt 0x0
	s_or_b32 exec_lo, exec_lo, s11
	s_cmp_lg_u32 s7, s9
	s_mov_b32 s8, s9
	s_cbranch_scc0 .LBB2_13
.LBB2_11:                               ;   Parent Loop BB2_4 Depth=1
                                        ; =>  This Inner Loop Header: Depth=2
	s_add_co_i32 s9, s8, 1
	s_and_saveexec_b32 s11, s0
	s_cbranch_execz .LBB2_10
; %bb.12:                               ;   in Loop: Header=BB2_11 Depth=2
	s_and_b32 s12, s8, 7
	v_cvt_f64_u32_e32 v[14:15], s9
	s_lshl_b32 s12, 1, s12
	s_delay_alu instid0(SALU_CYCLE_1) | instskip(NEXT) | instid1(VALU_DEP_1)
	v_cvt_f64_u32_e32 v[16:17], s12
	v_mul_f64_e32 v[14:15], v[14:15], v[16:17]
	s_delay_alu instid0(VALU_DEP_1) | instskip(NEXT) | instid1(VALU_DEP_1)
	v_dual_mul_f64 v[14:15], v[14:15], v[6:7] :: v_dual_add_nc_u32 v16, s8, v9
	v_mul_f64_e32 v[14:15], v[14:15], v[4:5]
	s_delay_alu instid0(VALU_DEP_1) | instskip(NEXT) | instid1(VALU_DEP_1)
	v_mul_f64_e32 v[14:15], 4.0, v[14:15]
	v_mul_f64_e32 v[14:15], v[14:15], v[0:1]
	s_wait_kmcnt 0x0
	global_store_b64 v16, v[14:15], s[2:3] scale_offset
	s_branch .LBB2_10
.LBB2_13:                               ;   in Loop: Header=BB2_4 Depth=1
	s_mov_b32 s8, 0
	s_branch .LBB2_15
.LBB2_14:                               ;   in Loop: Header=BB2_15 Depth=2
	s_wait_xcnt 0x0
	s_or_b32 exec_lo, exec_lo, s11
	s_cmp_lg_u32 s7, s9
	s_mov_b32 s8, s9
	s_cbranch_scc0 .LBB2_17
.LBB2_15:                               ;   Parent Loop BB2_4 Depth=1
                                        ; =>  This Inner Loop Header: Depth=2
	s_add_co_i32 s9, s8, 1
	s_and_saveexec_b32 s11, s0
	s_cbranch_execz .LBB2_14
; %bb.16:                               ;   in Loop: Header=BB2_15 Depth=2
	s_and_b32 s12, s8, 7
	v_cvt_f64_u32_e32 v[14:15], s9
	s_lshl_b32 s12, 1, s12
	s_delay_alu instid0(SALU_CYCLE_1) | instskip(NEXT) | instid1(VALU_DEP_1)
	v_cvt_f64_u32_e32 v[16:17], s12
	v_dual_mul_f64 v[14:15], v[14:15], v[16:17] :: v_dual_add_nc_u32 v16, s8, v10
	s_delay_alu instid0(VALU_DEP_1) | instskip(NEXT) | instid1(VALU_DEP_1)
	v_mul_f64_e32 v[14:15], v[14:15], v[6:7]
	v_mul_f64_e32 v[14:15], v[14:15], v[4:5]
	s_delay_alu instid0(VALU_DEP_1) | instskip(NEXT) | instid1(VALU_DEP_1)
	v_ldexp_f64 v[14:15], v[14:15], 3
	v_mul_f64_e32 v[14:15], v[14:15], v[0:1]
	s_wait_kmcnt 0x0
	global_store_b64 v16, v[14:15], s[2:3] scale_offset
	s_branch .LBB2_14
.LBB2_17:                               ;   in Loop: Header=BB2_4 Depth=1
	s_mov_b32 s8, 0
	s_branch .LBB2_19
.LBB2_18:                               ;   in Loop: Header=BB2_19 Depth=2
	s_wait_xcnt 0x0
	s_or_b32 exec_lo, exec_lo, s11
	s_cmp_lg_u32 s7, s9
	s_mov_b32 s8, s9
	s_cbranch_scc0 .LBB2_3
.LBB2_19:                               ;   Parent Loop BB2_4 Depth=1
                                        ; =>  This Inner Loop Header: Depth=2
	s_add_co_i32 s9, s8, 1
	s_and_saveexec_b32 s11, s0
	s_cbranch_execz .LBB2_18
; %bb.20:                               ;   in Loop: Header=BB2_19 Depth=2
	s_and_b32 s12, s8, 7
	v_cvt_f64_u32_e32 v[14:15], s9
	s_lshl_b32 s12, 1, s12
	s_delay_alu instid0(SALU_CYCLE_1) | instskip(NEXT) | instid1(VALU_DEP_1)
	v_cvt_f64_u32_e32 v[16:17], s12
	v_dual_mul_f64 v[14:15], v[14:15], v[16:17] :: v_dual_add_nc_u32 v16, s8, v11
	s_delay_alu instid0(VALU_DEP_1) | instskip(NEXT) | instid1(VALU_DEP_1)
	v_mul_f64_e32 v[14:15], v[14:15], v[6:7]
	v_mul_f64_e32 v[14:15], v[14:15], v[4:5]
	s_delay_alu instid0(VALU_DEP_1)
	v_mul_f64_e32 v[14:15], v[14:15], v[0:1]
	s_wait_kmcnt 0x0
	global_store_b64 v16, v[14:15], s[2:3] scale_offset
	s_branch .LBB2_18
.LBB2_21:
	s_endpgm
	.section	.rodata,"a",@progbits
	.p2align	6, 0x0
	.amdhsa_kernel _Z11init_faceyziiiiiiiii11StepInfoAllPd
		.amdhsa_group_segment_fixed_size 0
		.amdhsa_private_segment_fixed_size 0
		.amdhsa_kernarg_size 400
		.amdhsa_user_sgpr_count 2
		.amdhsa_user_sgpr_dispatch_ptr 0
		.amdhsa_user_sgpr_queue_ptr 0
		.amdhsa_user_sgpr_kernarg_segment_ptr 1
		.amdhsa_user_sgpr_dispatch_id 0
		.amdhsa_user_sgpr_kernarg_preload_length 0
		.amdhsa_user_sgpr_kernarg_preload_offset 0
		.amdhsa_user_sgpr_private_segment_size 0
		.amdhsa_wavefront_size32 1
		.amdhsa_uses_dynamic_stack 0
		.amdhsa_enable_private_segment 0
		.amdhsa_system_sgpr_workgroup_id_x 1
		.amdhsa_system_sgpr_workgroup_id_y 1
		.amdhsa_system_sgpr_workgroup_id_z 1
		.amdhsa_system_sgpr_workgroup_info 0
		.amdhsa_system_vgpr_workitem_id 2
		.amdhsa_next_free_vgpr 18
		.amdhsa_next_free_sgpr 20
		.amdhsa_named_barrier_count 0
		.amdhsa_reserve_vcc 1
		.amdhsa_float_round_mode_32 0
		.amdhsa_float_round_mode_16_64 0
		.amdhsa_float_denorm_mode_32 3
		.amdhsa_float_denorm_mode_16_64 3
		.amdhsa_fp16_overflow 0
		.amdhsa_memory_ordered 1
		.amdhsa_forward_progress 1
		.amdhsa_inst_pref_size 10
		.amdhsa_round_robin_scheduling 0
		.amdhsa_exception_fp_ieee_invalid_op 0
		.amdhsa_exception_fp_denorm_src 0
		.amdhsa_exception_fp_ieee_div_zero 0
		.amdhsa_exception_fp_ieee_overflow 0
		.amdhsa_exception_fp_ieee_underflow 0
		.amdhsa_exception_fp_ieee_inexact 0
		.amdhsa_exception_int_div_zero 0
	.end_amdhsa_kernel
	.text
.Lfunc_end2:
	.size	_Z11init_faceyziiiiiiiii11StepInfoAllPd, .Lfunc_end2-_Z11init_faceyziiiiiiiii11StepInfoAllPd
                                        ; -- End function
	.set _Z11init_faceyziiiiiiiii11StepInfoAllPd.num_vgpr, 18
	.set _Z11init_faceyziiiiiiiii11StepInfoAllPd.num_agpr, 0
	.set _Z11init_faceyziiiiiiiii11StepInfoAllPd.numbered_sgpr, 20
	.set _Z11init_faceyziiiiiiiii11StepInfoAllPd.num_named_barrier, 0
	.set _Z11init_faceyziiiiiiiii11StepInfoAllPd.private_seg_size, 0
	.set _Z11init_faceyziiiiiiiii11StepInfoAllPd.uses_vcc, 1
	.set _Z11init_faceyziiiiiiiii11StepInfoAllPd.uses_flat_scratch, 0
	.set _Z11init_faceyziiiiiiiii11StepInfoAllPd.has_dyn_sized_stack, 0
	.set _Z11init_faceyziiiiiiiii11StepInfoAllPd.has_recursion, 0
	.set _Z11init_faceyziiiiiiiii11StepInfoAllPd.has_indirect_call, 0
	.section	.AMDGPU.csdata,"",@progbits
; Kernel info:
; codeLenInByte = 1180
; TotalNumSgprs: 22
; NumVgprs: 18
; ScratchSize: 0
; MemoryBound: 0
; FloatMode: 240
; IeeeMode: 1
; LDSByteSize: 0 bytes/workgroup (compile time only)
; SGPRBlocks: 0
; VGPRBlocks: 1
; NumSGPRsForWavesPerEU: 22
; NumVGPRsForWavesPerEU: 18
; NamedBarCnt: 0
; Occupancy: 16
; WaveLimiterHint : 0
; COMPUTE_PGM_RSRC2:SCRATCH_EN: 0
; COMPUTE_PGM_RSRC2:USER_SGPR: 2
; COMPUTE_PGM_RSRC2:TRAP_HANDLER: 0
; COMPUTE_PGM_RSRC2:TGID_X_EN: 1
; COMPUTE_PGM_RSRC2:TGID_Y_EN: 1
; COMPUTE_PGM_RSRC2:TGID_Z_EN: 1
; COMPUTE_PGM_RSRC2:TIDIG_COMP_CNT: 2
	.text
	.protected	_Z10wavefrontsiiiii10Dimensions11StepInfoAllPdS1_S1_S1_S1_S1_S1_S1_ ; -- Begin function _Z10wavefrontsiiiii10Dimensions11StepInfoAllPdS1_S1_S1_S1_S1_S1_S1_
	.globl	_Z10wavefrontsiiiii10Dimensions11StepInfoAllPdS1_S1_S1_S1_S1_S1_S1_
	.p2align	8
	.type	_Z10wavefrontsiiiii10Dimensions11StepInfoAllPdS1_S1_S1_S1_S1_S1_S1_,@function
_Z10wavefrontsiiiii10Dimensions11StepInfoAllPdS1_S1_S1_S1_S1_S1_S1_: ; @_Z10wavefrontsiiiii10Dimensions11StepInfoAllPdS1_S1_S1_S1_S1_S1_S1_
; %bb.0:
	s_load_b32 s2, s[0:1], 0xdc
	s_bfe_u32 s4, ttmp6, 0x4000c
	s_bfe_u32 s5, ttmp6, 0x40010
	s_clause 0x1
	s_load_b128 s[24:27], s[0:1], 0x14
	s_load_b128 s[28:31], s[0:1], 0x0
	s_add_co_i32 s4, s4, 1
	s_add_co_i32 s5, s5, 1
	s_and_b32 s3, ttmp6, 15
	s_bfe_u32 s6, ttmp6, 0x40004
	s_mul_i32 s4, ttmp9, s4
	s_mul_i32 s5, ttmp7, s5
	s_getreg_b32 s7, hwreg(HW_REG_IB_STS2, 6, 4)
	v_and_b32_e32 v1, 0x3ff, v0
	v_bfe_u32 v0, v0, 10, 10
	s_add_co_i32 s3, s3, s4
	s_add_co_i32 s6, s6, s5
	s_wait_kmcnt 0x0
	s_lshr_b32 s4, s2, 16
	s_and_b32 s2, s2, 0xffff
	s_cmp_eq_u32 s7, 0
	s_cselect_b32 s5, ttmp7, s6
	s_cselect_b32 s3, ttmp9, s3
	v_mad_u32 v26, s5, s4, v0
	v_mad_u32 v6, s3, s2, v1
	s_mov_b32 s6, 0
	s_delay_alu instid0(VALU_DEP_2) | instskip(NEXT) | instid1(VALU_DEP_2)
	v_cmp_gt_i32_e32 vcc_lo, s27, v26
	v_cmp_gt_i32_e64 s2, 8, v6
	s_and_b32 s2, s2, vcc_lo
	s_cmp_gt_i32 s28, 0
	s_cselect_b32 s3, -1, 0
	s_delay_alu instid0(SALU_CYCLE_1) | instskip(NEXT) | instid1(SALU_CYCLE_1)
	s_and_b32 s2, s2, s3
	s_and_saveexec_b32 s3, s2
	s_cbranch_execz .LBB3_55
; %bb.1:
	v_add_nc_u32_e32 v0, 1, v6
	s_clause 0x2
	s_load_b64 s[34:35], s[0:1], 0x24
	s_load_b256 s[8:15], s[0:1], 0xb0
	s_load_b256 s[16:23], s[0:1], 0x90
	v_mul_lo_u32 v27, v6, s25
	v_cvt_f64_i32_e32 v[0:1], v0
	v_mul_lo_u32 v29, v6, s26
	s_cmp_gt_i32 s25, 0
	v_and_b32_e32 v7, 2, v6
	s_cselect_b32 s5, -1, 0
	s_cmp_gt_i32 s24, 0
	s_mov_b32 s40, 0
	s_cselect_b32 s33, -1, 0
	s_wait_kmcnt 0x0
	s_cmp_gt_i32 s35, 0
	s_cselect_b32 s36, -1, 0
	s_cmp_gt_i32 s34, 0
	s_cselect_b32 s37, -1, 0
	s_lshl_b32 s38, s34, 2
	s_lshl_b32 s39, s35, 2
	s_delay_alu instid0(VALU_DEP_3) | instskip(NEXT) | instid1(VALU_DEP_1)
	v_div_scale_f64 v[2:3], null, v[0:1], v[0:1], 1.0
	v_rcp_f64_e32 v[4:5], v[2:3]
	v_nop
	s_delay_alu instid0(TRANS32_DEP_1) | instskip(NEXT) | instid1(VALU_DEP_1)
	v_fma_f64 v[8:9], -v[2:3], v[4:5], 1.0
	v_fmac_f64_e32 v[4:5], v[4:5], v[8:9]
	s_delay_alu instid0(VALU_DEP_1) | instskip(NEXT) | instid1(VALU_DEP_1)
	v_fma_f64 v[8:9], -v[2:3], v[4:5], 1.0
	v_fmac_f64_e32 v[4:5], v[4:5], v[8:9]
	v_div_scale_f64 v[8:9], vcc_lo, 1.0, v[0:1], 1.0
	s_delay_alu instid0(VALU_DEP_1) | instskip(NEXT) | instid1(VALU_DEP_1)
	v_mul_f64_e32 v[10:11], v[8:9], v[4:5]
	v_fma_f64 v[2:3], -v[2:3], v[10:11], v[8:9]
	v_mul_lo_u32 v9, s35, v6
	s_delay_alu instid0(VALU_DEP_1) | instskip(NEXT) | instid1(VALU_DEP_3)
	v_dual_lshlrev_b32 v30, 2, v9 :: v_dual_bitop2_b32 v8, 1, v6 bitop3:0x40
	v_div_fmas_f64 v[2:3], v[2:3], v[4:5], v[10:11]
	v_mad_nc_i64_i32 v[4:5], v6, 12, s[0:1]
	v_dual_mov_b32 v6, 0 :: v_dual_bitop2_b32 v10, 4, v6 bitop3:0x40
	v_cmp_eq_u32_e64 s0, 0, v7
	v_add_nc_u32_e32 v28, 3, v7
	v_cmp_eq_u32_e64 s1, 0, v8
	s_delay_alu instid0(VALU_DEP_4)
	v_cmp_eq_u32_e64 s2, 0, v10
	v_add_nc_u64_e32 v[4:5], 44, v[4:5]
	v_div_fixup_f64 v[2:3], v[2:3], v[0:1], 1.0
	s_branch .LBB3_3
.LBB3_2:                                ;   in Loop: Header=BB3_3 Depth=1
	s_add_co_i32 s40, s40, 1
	s_delay_alu instid0(SALU_CYCLE_1)
	s_cmp_eq_u32 s40, s28
	s_cbranch_scc1 .LBB3_55
.LBB3_3:                                ; =>This Loop Header: Depth=1
                                        ;     Child Loop BB3_6 Depth 2
                                        ;       Child Loop BB3_9 Depth 3
                                        ;         Child Loop BB3_14 Depth 4
                                        ;           Child Loop BB3_16 Depth 5
                                        ;         Child Loop BB3_19 Depth 4
                                        ;           Child Loop BB3_21 Depth 5
                                        ;         Child Loop BB3_24 Depth 4
                                        ;           Child Loop BB3_26 Depth 5
                                        ;         Child Loop BB3_29 Depth 4
                                        ;           Child Loop BB3_31 Depth 5
                                        ;         Child Loop BB3_33 Depth 4
                                        ;         Child Loop BB3_37 Depth 4
                                        ;           Child Loop BB3_39 Depth 5
                                        ;         Child Loop BB3_42 Depth 4
                                        ;           Child Loop BB3_44 Depth 5
	;; [unrolled: 2-line block ×4, first 2 shown]
	s_and_not1_b32 vcc_lo, exec_lo, s5
	s_cbranch_vccnz .LBB3_2
; %bb.4:                                ;   in Loop: Header=BB3_3 Depth=1
	s_mov_b32 s41, 0
	s_branch .LBB3_6
.LBB3_5:                                ;   in Loop: Header=BB3_6 Depth=2
	s_add_co_i32 s41, s41, 1
	s_delay_alu instid0(SALU_CYCLE_1)
	s_cmp_eq_u32 s41, s25
	s_cbranch_scc1 .LBB3_2
.LBB3_6:                                ;   Parent Loop BB3_3 Depth=1
                                        ; =>  This Loop Header: Depth=2
                                        ;       Child Loop BB3_9 Depth 3
                                        ;         Child Loop BB3_14 Depth 4
                                        ;           Child Loop BB3_16 Depth 5
                                        ;         Child Loop BB3_19 Depth 4
                                        ;           Child Loop BB3_21 Depth 5
	;; [unrolled: 2-line block ×4, first 2 shown]
                                        ;         Child Loop BB3_33 Depth 4
                                        ;         Child Loop BB3_37 Depth 4
                                        ;           Child Loop BB3_39 Depth 5
                                        ;         Child Loop BB3_42 Depth 4
                                        ;           Child Loop BB3_44 Depth 5
	;; [unrolled: 2-line block ×4, first 2 shown]
	s_and_not1_b32 vcc_lo, exec_lo, s33
	s_cbranch_vccnz .LBB3_5
; %bb.7:                                ;   in Loop: Header=BB3_6 Depth=2
	global_load_b32 v7, v[4:5], off offset:8
	v_mov_b32_e32 v8, s41
	s_not_b32 s3, s41
	s_mov_b32 s42, 0
	s_add_co_i32 s3, s25, s3
	s_delay_alu instid0(VALU_DEP_1) | instid1(SALU_CYCLE_1)
	v_cndmask_b32_e64 v31, s3, v8, s0
	s_delay_alu instid0(VALU_DEP_1) | instskip(SKIP_1) | instid1(VALU_DEP_2)
	v_add_nc_u32_e32 v8, v31, v27
	v_xad_u32 v9, v31, -1, s25
	v_mul_lo_u32 v32, v8, s24
	s_delay_alu instid0(VALU_DEP_2)
	v_cndmask_b32_e64 v33, v9, s41, s0
	s_wait_loadcnt 0x0
	v_cmp_ne_u32_e64 s3, 0, v7
	s_branch .LBB3_9
.LBB3_8:                                ;   in Loop: Header=BB3_9 Depth=3
	s_wait_xcnt 0x0
	s_or_b32 exec_lo, exec_lo, s43
	s_add_co_i32 s42, s42, 1
	s_delay_alu instid0(SALU_CYCLE_1)
	s_cmp_eq_u32 s42, s24
	s_cbranch_scc1 .LBB3_5
.LBB3_9:                                ;   Parent Loop BB3_3 Depth=1
                                        ;     Parent Loop BB3_6 Depth=2
                                        ; =>    This Loop Header: Depth=3
                                        ;         Child Loop BB3_14 Depth 4
                                        ;           Child Loop BB3_16 Depth 5
                                        ;         Child Loop BB3_19 Depth 4
                                        ;           Child Loop BB3_21 Depth 5
	;; [unrolled: 2-line block ×4, first 2 shown]
                                        ;         Child Loop BB3_33 Depth 4
                                        ;         Child Loop BB3_37 Depth 4
                                        ;           Child Loop BB3_39 Depth 5
                                        ;         Child Loop BB3_42 Depth 4
                                        ;           Child Loop BB3_44 Depth 5
	;; [unrolled: 2-line block ×4, first 2 shown]
	s_wait_xcnt 0x0
	s_delay_alu instid0(VALU_DEP_1)
	s_and_saveexec_b32 s43, s3
	s_cbranch_execz .LBB3_8
; %bb.10:                               ;   in Loop: Header=BB3_9 Depth=3
	v_mov_b32_e32 v7, s42
	s_not_b32 s4, s42
	s_delay_alu instid0(SALU_CYCLE_1)
	s_add_co_i32 s4, s24, s4
	s_delay_alu instid0(VALU_DEP_1) | instid1(SALU_CYCLE_1)
	v_cndmask_b32_e64 v7, s4, v7, s1
	s_delay_alu instid0(VALU_DEP_1) | instskip(NEXT) | instid1(VALU_DEP_1)
	v_xad_u32 v8, v7, -1, s24
	v_cndmask_b32_e64 v8, v8, s42, s1
	s_delay_alu instid0(VALU_DEP_1) | instskip(NEXT) | instid1(VALU_DEP_1)
	v_add_nc_u32_e32 v8, v33, v8
	v_sub_nc_u32_e32 v8, s40, v8
	s_delay_alu instid0(VALU_DEP_1) | instskip(NEXT) | instid1(VALU_DEP_1)
	v_xad_u32 v9, v8, -1, s26
	v_cndmask_b32_e64 v20, v9, v8, s2
	s_delay_alu instid0(VALU_DEP_1) | instskip(SKIP_2) | instid1(SALU_CYCLE_1)
	v_cmp_lt_i32_e32 vcc_lo, -1, v20
	v_cmp_gt_i32_e64 s4, s26, v20
	s_and_b32 s4, vcc_lo, s4
	s_and_b32 exec_lo, exec_lo, s4
	s_cbranch_execz .LBB3_8
; %bb.11:                               ;   in Loop: Header=BB3_9 Depth=3
	global_load_b32 v21, v[4:5], off
	v_mad_u32 v8, v20, s27, v26
	s_and_not1_b32 vcc_lo, exec_lo, s36
	s_delay_alu instid0(VALU_DEP_1) | instskip(NEXT) | instid1(VALU_DEP_1)
	v_mad_u32 v8, v8, s25, v31
	v_mad_u32 v10, v8, s24, v7
	s_delay_alu instid0(VALU_DEP_1) | instskip(NEXT) | instid1(VALU_DEP_1)
	v_dual_add_nc_u32 v9, v7, v32 :: v_dual_lshlrev_b32 v36, 2, v10
	v_mad_u32 v35, v9, s27, v26
	s_delay_alu instid0(VALU_DEP_1) | instskip(SKIP_2) | instid1(VALU_DEP_1)
	v_lshlrev_b32_e32 v34, 2, v35
	s_wait_loadcnt 0x0
	v_mul_lo_u32 v8, v21, s31
	v_ashrrev_i32_e32 v9, 31, v8
	s_cbranch_vccnz .LBB3_34
; %bb.12:                               ;   in Loop: Header=BB3_9 Depth=3
	v_mul_lo_u32 v12, s38, v10
	s_delay_alu instid0(VALU_DEP_2) | instskip(SKIP_2) | instid1(VALU_DEP_3)
	v_lshlrev_b64_e32 v[10:11], 3, v[8:9]
	v_mul_lo_u32 v18, v34, s35
	s_mov_b32 s4, 0
	v_dual_mov_b32 v19, v30 :: v_dual_ashrrev_i32 v13, 31, v12
	s_delay_alu instid0(VALU_DEP_1) | instskip(NEXT) | instid1(VALU_DEP_1)
	v_lshl_add_u64 v[12:13], v[12:13], 3, v[10:11]
	v_add_nc_u64_e32 v[12:13], s[10:11], v[12:13]
	s_branch .LBB3_14
.LBB3_13:                               ;   in Loop: Header=BB3_14 Depth=4
	v_dual_add_nc_u32 v16, s4, v18 :: v_dual_add_nc_u32 v19, 1, v19
	s_add_co_i32 s4, s4, 1
	s_delay_alu instid0(SALU_CYCLE_1)
	s_cmp_lg_u32 s4, s35
	global_store_b64 v16, v[14:15], s[14:15] scale_offset
	s_cbranch_scc0 .LBB3_17
.LBB3_14:                               ;   Parent Loop BB3_3 Depth=1
                                        ;     Parent Loop BB3_6 Depth=2
                                        ;       Parent Loop BB3_9 Depth=3
                                        ; =>      This Loop Header: Depth=4
                                        ;           Child Loop BB3_16 Depth 5
	s_wait_xcnt 0x0
	v_mov_b64_e32 v[14:15], 0
	s_and_not1_b32 vcc_lo, exec_lo, s37
	s_cbranch_vccnz .LBB3_13
; %bb.15:                               ;   in Loop: Header=BB3_14 Depth=4
	s_delay_alu instid0(VALU_DEP_2)
	v_mov_b64_e32 v[16:17], v[12:13]
	v_mov_b32_e32 v22, v19
	s_mov_b32 s7, s34
.LBB3_16:                               ;   Parent Loop BB3_3 Depth=1
                                        ;     Parent Loop BB3_6 Depth=2
                                        ;       Parent Loop BB3_9 Depth=3
                                        ;         Parent Loop BB3_14 Depth=4
                                        ; =>        This Inner Loop Header: Depth=5
	global_load_b64 v[24:25], v22, s[22:23] scale_offset
	global_load_b64 v[38:39], v[16:17], off
	s_wait_xcnt 0x0
	v_add_nc_u64_e32 v[16:17], 8, v[16:17]
	v_add_nc_u32_e32 v22, s35, v22
	s_add_co_i32 s7, s7, -1
	s_delay_alu instid0(SALU_CYCLE_1)
	s_cmp_lg_u32 s7, 0
	s_wait_loadcnt 0x0
	v_fmac_f64_e32 v[14:15], v[24:25], v[38:39]
	s_cbranch_scc1 .LBB3_16
	s_branch .LBB3_13
.LBB3_17:                               ;   in Loop: Header=BB3_9 Depth=3
	v_mad_u32 v12, v36, s34, s34
	s_mov_b32 s4, 0
	s_delay_alu instid0(VALU_DEP_1) | instskip(SKIP_1) | instid1(VALU_DEP_1)
	v_dual_add_nc_u32 v22, s35, v18 :: v_dual_ashrrev_i32 v13, 31, v12
	s_wait_xcnt 0x0
	v_lshl_add_u64 v[14:15], v[12:13], 3, v[10:11]
	v_mov_b32_e32 v13, v30
	s_delay_alu instid0(VALU_DEP_2)
	v_add_nc_u64_e32 v[14:15], s[10:11], v[14:15]
	s_branch .LBB3_19
.LBB3_18:                               ;   in Loop: Header=BB3_19 Depth=4
	v_dual_add_nc_u32 v18, s4, v22 :: v_dual_add_nc_u32 v13, 1, v13
	s_add_co_i32 s4, s4, 1
	s_delay_alu instid0(SALU_CYCLE_1)
	s_cmp_lg_u32 s4, s35
	global_store_b64 v18, v[16:17], s[14:15] scale_offset
	s_cbranch_scc0 .LBB3_22
.LBB3_19:                               ;   Parent Loop BB3_3 Depth=1
                                        ;     Parent Loop BB3_6 Depth=2
                                        ;       Parent Loop BB3_9 Depth=3
                                        ; =>      This Loop Header: Depth=4
                                        ;           Child Loop BB3_21 Depth 5
	s_wait_xcnt 0x0
	v_mov_b64_e32 v[16:17], 0
	s_and_not1_b32 vcc_lo, exec_lo, s37
	s_cbranch_vccnz .LBB3_18
; %bb.20:                               ;   in Loop: Header=BB3_19 Depth=4
	s_delay_alu instid0(VALU_DEP_2)
	v_mov_b64_e32 v[18:19], v[14:15]
	v_mov_b32_e32 v23, v13
	s_mov_b32 s7, s34
.LBB3_21:                               ;   Parent Loop BB3_3 Depth=1
                                        ;     Parent Loop BB3_6 Depth=2
                                        ;       Parent Loop BB3_9 Depth=3
                                        ;         Parent Loop BB3_19 Depth=4
                                        ; =>        This Inner Loop Header: Depth=5
	global_load_b64 v[24:25], v23, s[22:23] scale_offset
	global_load_b64 v[38:39], v[18:19], off
	s_wait_xcnt 0x0
	v_add_nc_u64_e32 v[18:19], 8, v[18:19]
	v_add_nc_u32_e32 v23, s35, v23
	s_add_co_i32 s7, s7, -1
	s_delay_alu instid0(SALU_CYCLE_1)
	s_cmp_lg_u32 s7, 0
	s_wait_loadcnt 0x0
	v_fmac_f64_e32 v[16:17], v[24:25], v[38:39]
	s_cbranch_scc1 .LBB3_21
	s_branch .LBB3_18
.LBB3_22:                               ;   in Loop: Header=BB3_9 Depth=3
	v_add_nc_u32_e32 v12, s34, v12
	s_mov_b32 s4, 0
	s_delay_alu instid0(VALU_DEP_1) | instskip(NEXT) | instid1(VALU_DEP_1)
	v_ashrrev_i32_e32 v13, 31, v12
	v_lshl_add_u64 v[14:15], v[12:13], 3, v[10:11]
	v_dual_mov_b32 v22, v30 :: v_dual_add_nc_u32 v13, s35, v22
	s_delay_alu instid0(VALU_DEP_2)
	v_add_nc_u64_e32 v[14:15], s[10:11], v[14:15]
	s_branch .LBB3_24
.LBB3_23:                               ;   in Loop: Header=BB3_24 Depth=4
	v_dual_add_nc_u32 v18, s4, v13 :: v_dual_add_nc_u32 v22, 1, v22
	s_add_co_i32 s4, s4, 1
	s_delay_alu instid0(SALU_CYCLE_1)
	s_cmp_lg_u32 s4, s35
	global_store_b64 v18, v[16:17], s[14:15] scale_offset
	s_cbranch_scc0 .LBB3_27
.LBB3_24:                               ;   Parent Loop BB3_3 Depth=1
                                        ;     Parent Loop BB3_6 Depth=2
                                        ;       Parent Loop BB3_9 Depth=3
                                        ; =>      This Loop Header: Depth=4
                                        ;           Child Loop BB3_26 Depth 5
	s_wait_xcnt 0x0
	v_mov_b64_e32 v[16:17], 0
	s_and_not1_b32 vcc_lo, exec_lo, s37
	s_cbranch_vccnz .LBB3_23
; %bb.25:                               ;   in Loop: Header=BB3_24 Depth=4
	s_delay_alu instid0(VALU_DEP_2)
	v_mov_b64_e32 v[18:19], v[14:15]
	v_mov_b32_e32 v23, v22
	s_mov_b32 s7, s34
.LBB3_26:                               ;   Parent Loop BB3_3 Depth=1
                                        ;     Parent Loop BB3_6 Depth=2
                                        ;       Parent Loop BB3_9 Depth=3
                                        ;         Parent Loop BB3_24 Depth=4
                                        ; =>        This Inner Loop Header: Depth=5
	global_load_b64 v[24:25], v23, s[22:23] scale_offset
	global_load_b64 v[38:39], v[18:19], off
	s_wait_xcnt 0x0
	v_add_nc_u64_e32 v[18:19], 8, v[18:19]
	v_add_nc_u32_e32 v23, s35, v23
	s_add_co_i32 s7, s7, -1
	s_delay_alu instid0(SALU_CYCLE_1)
	s_cmp_lg_u32 s7, 0
	s_wait_loadcnt 0x0
	v_fmac_f64_e32 v[16:17], v[24:25], v[38:39]
	s_cbranch_scc1 .LBB3_26
	s_branch .LBB3_23
.LBB3_27:                               ;   in Loop: Header=BB3_9 Depth=3
	s_wait_xcnt 0x0
	v_dual_add_nc_u32 v14, s34, v12 :: v_dual_add_nc_u32 v16, s35, v13
	s_mov_b32 s4, 0
	s_delay_alu instid0(VALU_DEP_1) | instskip(NEXT) | instid1(VALU_DEP_1)
	v_dual_mov_b32 v17, v30 :: v_dual_ashrrev_i32 v15, 31, v14
	v_lshl_add_u64 v[10:11], v[14:15], 3, v[10:11]
	s_delay_alu instid0(VALU_DEP_1)
	v_add_nc_u64_e32 v[10:11], s[10:11], v[10:11]
	s_branch .LBB3_29
.LBB3_28:                               ;   in Loop: Header=BB3_29 Depth=4
	v_dual_add_nc_u32 v14, s4, v16 :: v_dual_add_nc_u32 v17, 1, v17
	s_add_co_i32 s4, s4, 1
	s_delay_alu instid0(SALU_CYCLE_1)
	s_cmp_lg_u32 s4, s35
	global_store_b64 v14, v[12:13], s[14:15] scale_offset
	s_cbranch_scc0 .LBB3_32
.LBB3_29:                               ;   Parent Loop BB3_3 Depth=1
                                        ;     Parent Loop BB3_6 Depth=2
                                        ;       Parent Loop BB3_9 Depth=3
                                        ; =>      This Loop Header: Depth=4
                                        ;           Child Loop BB3_31 Depth 5
	s_wait_xcnt 0x0
	v_mov_b64_e32 v[12:13], 0
	s_and_not1_b32 vcc_lo, exec_lo, s37
	s_cbranch_vccnz .LBB3_28
; %bb.30:                               ;   in Loop: Header=BB3_29 Depth=4
	s_delay_alu instid0(VALU_DEP_2)
	v_mov_b64_e32 v[14:15], v[10:11]
	v_mov_b32_e32 v18, v17
	s_mov_b32 s7, s34
.LBB3_31:                               ;   Parent Loop BB3_3 Depth=1
                                        ;     Parent Loop BB3_6 Depth=2
                                        ;       Parent Loop BB3_9 Depth=3
                                        ;         Parent Loop BB3_29 Depth=4
                                        ; =>        This Inner Loop Header: Depth=5
	global_load_b64 v[22:23], v18, s[22:23] scale_offset
	global_load_b64 v[24:25], v[14:15], off
	s_wait_xcnt 0x0
	v_add_nc_u64_e32 v[14:15], 8, v[14:15]
	v_add_nc_u32_e32 v18, s35, v18
	s_add_co_i32 s7, s7, -1
	s_delay_alu instid0(SALU_CYCLE_1)
	s_cmp_lg_u32 s7, 0
	s_wait_loadcnt 0x0
	v_fmac_f64_e32 v[12:13], v[22:23], v[24:25]
	s_cbranch_scc1 .LBB3_31
	s_branch .LBB3_28
.LBB3_32:                               ;   in Loop: Header=BB3_9 Depth=3
	s_add_co_i32 s4, s41, s42
	v_cndmask_b32_e64 v16, 1, 3, s2
	s_sub_co_i32 s4, s40, s4
	v_dual_add_nc_u32 v15, 3, v34 :: v_dual_add_nc_u32 v19, 2, v34
	v_dual_mov_b32 v10, s4 :: v_dual_add_nc_u32 v11, s30, v31
	s_not_b32 s4, s4
	s_delay_alu instid0(VALU_DEP_2)
	v_mul_lo_u32 v37, s35, v15
	s_add_co_i32 s4, s26, s4
	v_mul_lo_u32 v18, s39, v35
	v_cndmask_b32_e64 v10, s4, v10, s2
	v_mul_lo_u32 v38, s35, v19
	s_mov_b32 s4, 0
	s_wait_xcnt 0x0
	s_delay_alu instid0(VALU_DEP_2) | instskip(NEXT) | instid1(VALU_DEP_4)
	v_dual_mov_b32 v12, v6 :: v_dual_add_nc_u32 v10, v11, v10
	v_dual_add_nc_u32 v11, v20, v29 :: v_dual_ashrrev_i32 v19, 31, v18
	s_delay_alu instid0(VALU_DEP_1) | instskip(SKIP_1) | instid1(VALU_DEP_4)
	v_mad_u32 v14, v11, s24, v7
	v_add_nc_u32_e32 v7, s29, v7
	v_mad_u32 v13, v21, s26, v10
	v_mad_u32 v11, v11, s25, v31
	v_mov_b32_e32 v10, v6
	v_mad_u32 v20, v14, s27, v26
	s_delay_alu instid0(VALU_DEP_4) | instskip(SKIP_3) | instid1(VALU_DEP_3)
	v_mad_u32 v17, v13, 3, v7
	v_dual_add_nc_u32 v14, v28, v13 :: v_dual_add_nc_u32 v13, v13, v16
	v_cndmask_b32_e64 v16, 1, 3, s1
	v_mad_u32 v21, v11, s27, v26
	v_dual_sub_nc_u32 v14, v7, v14 :: v_dual_sub_nc_u32 v7, v7, v13
	v_mul_lo_u32 v24, s39, v20
	v_bitop3_b32 v13, v17, 2, 3 bitop3:0x6c
	s_delay_alu instid0(VALU_DEP_3)
	v_bitop3_b32 v14, v14, 2, 3 bitop3:0x6c
	v_add_nc_u32_e32 v11, v17, v16
	v_bitop3_b32 v7, v7, 2, 3 bitop3:0x6c
	v_lshlrev_b32_e32 v16, 2, v20
	v_lshlrev_b32_e64 v15, v13, 1
	v_lshlrev_b32_e32 v17, 20, v14
	v_bitop3_b32 v11, v11, 2, 3 bitop3:0x6c
	v_dual_lshlrev_b32 v7, 20, v7 :: v_dual_lshlrev_b32 v22, 20, v13
	s_delay_alu instid0(VALU_DEP_4) | instskip(NEXT) | instid1(VALU_DEP_3)
	v_cvt_f64_u32_e32 v[14:15], v15
	v_dual_lshlrev_b32 v23, 2, v21 :: v_dual_lshlrev_b32 v11, 20, v11
	v_xor_b32_e32 v13, 0x3ff00000, v17
	s_delay_alu instid0(VALU_DEP_4)
	v_xor_b32_e32 v17, 0x3ff00000, v7
	v_xor_b32_e32 v7, 0x3ff00000, v22
	v_mul_lo_u32 v22, s39, v21
	v_or_b32_e32 v25, 3, v23
	v_or_b32_e32 v21, 2, v23
	;; [unrolled: 1-line block ×3, first 2 shown]
	v_mad_u32 v39, s35, v23, s35
	v_mad_u32 v42, s35, v16, s35
	v_mul_lo_u32 v41, s35, v25
	v_or_b32_e32 v25, 2, v16
	v_mul_lo_u32 v44, s35, v44
	v_xor_b32_e32 v11, 0x3ff00000, v11
	v_dual_mov_b32 v16, v6 :: v_dual_ashrrev_i32 v23, 31, v22
	v_mul_lo_u32 v40, s35, v21
	v_lshlrev_b64_e32 v[20:21], 3, v[18:19]
	v_mul_lo_u32 v43, s35, v25
	v_ashrrev_i32_e32 v25, 31, v24
	v_lshl_add_u64 v[22:23], v[22:23], 3, s[20:21]
	s_delay_alu instid0(VALU_DEP_4) | instskip(SKIP_1) | instid1(VALU_DEP_4)
	v_add_nc_u64_e32 v[18:19], s[14:15], v[20:21]
	v_add_nc_u64_e32 v[20:21], s[16:17], v[20:21]
	v_lshl_add_u64 v[24:25], v[24:25], 3, s[18:19]
.LBB3_33:                               ;   Parent Loop BB3_3 Depth=1
                                        ;     Parent Loop BB3_6 Depth=2
                                        ;       Parent Loop BB3_9 Depth=3
                                        ; =>      This Inner Loop Header: Depth=4
	global_load_b64 v[46:47], v[24:25], off
	global_load_b64 v[48:49], v[20:21], off
	;; [unrolled: 1-line block ×4, first 2 shown]
	s_and_b32 s7, s4, 7
	v_add_nc_u32_e32 v45, s4, v42
	s_lshl_b32 s7, s7, 20
	v_add_nc_u32_e32 v57, s4, v39
	s_xor_b64 s[44:45], s[6:7], -1.0
	v_add_nc_u32_e32 v58, s4, v43
	v_add_f64_e64 v[54:55], 0x3fd00000, s[44:45]
	s_wait_loadcnt 0x3
	v_ldexp_f64 v[46:47], v[46:47], -2
	s_wait_loadcnt 0x2
	v_mul_f64_e32 v[48:49], 0.5, v[48:49]
	s_wait_loadcnt 0x1
	s_delay_alu instid0(VALU_DEP_3) | instskip(NEXT) | instid1(VALU_DEP_3)
	v_mul_f64_e32 v[50:51], v[50:51], v[54:55]
	v_mul_f64_e32 v[46:47], v[12:13], v[46:47]
	s_delay_alu instid0(VALU_DEP_1) | instskip(NEXT) | instid1(VALU_DEP_1)
	v_fmac_f64_e32 v[46:47], v[16:17], v[48:49]
	v_fmac_f64_e32 v[46:47], v[10:11], v[50:51]
	s_delay_alu instid0(VALU_DEP_1) | instskip(SKIP_1) | instid1(VALU_DEP_1)
	v_mul_f64_e32 v[46:47], v[2:3], v[46:47]
	s_wait_loadcnt 0x0
	v_fmac_f64_e32 v[46:47], v[6:7], v[52:53]
	v_mad_u32 v52, s35, v34, s35
	s_delay_alu instid0(VALU_DEP_1) | instskip(NEXT) | instid1(VALU_DEP_1)
	v_dual_mul_f64 v[46:47], v[46:47], v[14:15] :: v_dual_add_nc_u32 v56, s4, v52
	v_mul_f64_e32 v[48:49], v[46:47], v[0:1]
	global_store_b64 v[18:19], v[46:47], off
	global_load_b64 v[46:47], v56, s[14:15] scale_offset
	v_add_nc_u64_e32 v[18:19], 8, v[18:19]
	global_store_b64 v[24:25], v[48:49], off
	global_load_b64 v[50:51], v45, s[18:19] scale_offset
	global_store_b64 v[20:21], v[48:49], off
	global_load_b64 v[52:53], v56, s[16:17] scale_offset
	;; [unrolled: 2-line block ×3, first 2 shown]
	v_add_nc_u64_e32 v[22:23], 8, v[22:23]
	v_add_nc_u64_e32 v[24:25], 8, v[24:25]
	;; [unrolled: 1-line block ×3, first 2 shown]
	s_wait_loadcnt 0x2
	v_ldexp_f64 v[50:51], v[50:51], -2
	s_wait_loadcnt 0x1
	v_mul_f64_e32 v[52:53], 0.5, v[52:53]
	s_wait_loadcnt 0x0
	v_mul_f64_e32 v[48:49], v[54:55], v[48:49]
	s_delay_alu instid0(VALU_DEP_3) | instskip(NEXT) | instid1(VALU_DEP_1)
	v_mul_f64_e32 v[50:51], v[12:13], v[50:51]
	v_fmac_f64_e32 v[50:51], v[16:17], v[52:53]
	s_delay_alu instid0(VALU_DEP_1) | instskip(NEXT) | instid1(VALU_DEP_1)
	v_fmac_f64_e32 v[50:51], v[10:11], v[48:49]
	v_mul_f64_e32 v[48:49], v[2:3], v[50:51]
	s_delay_alu instid0(VALU_DEP_1) | instskip(NEXT) | instid1(VALU_DEP_1)
	v_fmac_f64_e32 v[48:49], v[6:7], v[46:47]
	v_mul_f64_e32 v[46:47], v[48:49], v[14:15]
	s_delay_alu instid0(VALU_DEP_1)
	v_mul_f64_e32 v[48:49], v[46:47], v[0:1]
	s_clause 0x1
	global_store_b64 v56, v[46:47], s[14:15] scale_offset
	global_store_b64 v56, v[48:49], s[16:17] scale_offset
	s_clause 0x1
	global_store_b64 v45, v[48:49], s[18:19] scale_offset
	global_load_b64 v[50:51], v58, s[18:19] scale_offset
	s_wait_xcnt 0x1
	v_dual_add_nc_u32 v45, s4, v38 :: v_dual_add_nc_u32 v56, s4, v40
	global_store_b64 v57, v[48:49], s[20:21] scale_offset
	s_wait_xcnt 0x0
	v_add_nc_u32_e32 v57, s4, v44
	s_clause 0x1
	global_load_b64 v[46:47], v45, s[14:15] scale_offset
	global_load_b64 v[52:53], v45, s[16:17] scale_offset
	;; [unrolled: 1-line block ×3, first 2 shown]
	s_wait_loadcnt 0x3
	v_ldexp_f64 v[50:51], v[50:51], -2
	s_wait_loadcnt 0x1
	v_mul_f64_e32 v[52:53], 0.5, v[52:53]
	s_wait_loadcnt 0x0
	v_mul_f64_e32 v[48:49], v[54:55], v[48:49]
	s_delay_alu instid0(VALU_DEP_3) | instskip(NEXT) | instid1(VALU_DEP_1)
	v_mul_f64_e32 v[50:51], v[12:13], v[50:51]
	v_fmac_f64_e32 v[50:51], v[16:17], v[52:53]
	s_delay_alu instid0(VALU_DEP_1) | instskip(NEXT) | instid1(VALU_DEP_1)
	v_fmac_f64_e32 v[50:51], v[10:11], v[48:49]
	v_mul_f64_e32 v[48:49], v[2:3], v[50:51]
	s_delay_alu instid0(VALU_DEP_1) | instskip(NEXT) | instid1(VALU_DEP_1)
	v_fmac_f64_e32 v[48:49], v[6:7], v[46:47]
	v_mul_f64_e32 v[46:47], v[48:49], v[14:15]
	s_delay_alu instid0(VALU_DEP_1)
	v_mul_f64_e32 v[48:49], v[46:47], v[0:1]
	s_clause 0x1
	global_store_b64 v45, v[46:47], s[14:15] scale_offset
	global_store_b64 v45, v[48:49], s[16:17] scale_offset
	s_clause 0x1
	global_store_b64 v58, v[48:49], s[18:19] scale_offset
	global_load_b64 v[50:51], v57, s[18:19] scale_offset
	s_wait_xcnt 0x1
	v_add_nc_u32_e32 v58, s4, v37
	v_add_nc_u32_e32 v45, s4, v41
	global_store_b64 v56, v[48:49], s[20:21] scale_offset
	s_add_co_i32 s4, s4, 1
	s_clause 0x1
	global_load_b64 v[46:47], v58, s[14:15] scale_offset
	global_load_b64 v[52:53], v58, s[16:17] scale_offset
	;; [unrolled: 1-line block ×3, first 2 shown]
	s_cmp_eq_u32 s35, s4
	s_wait_loadcnt 0x3
	v_ldexp_f64 v[50:51], v[50:51], -2
	s_wait_loadcnt 0x1
	v_mul_f64_e32 v[52:53], 0.5, v[52:53]
	s_wait_loadcnt 0x0
	v_mul_f64_e32 v[48:49], v[54:55], v[48:49]
	s_delay_alu instid0(VALU_DEP_3) | instskip(NEXT) | instid1(VALU_DEP_1)
	v_mul_f64_e32 v[50:51], v[12:13], v[50:51]
	v_fmac_f64_e32 v[50:51], v[16:17], v[52:53]
	s_delay_alu instid0(VALU_DEP_1) | instskip(NEXT) | instid1(VALU_DEP_1)
	v_fmac_f64_e32 v[50:51], v[10:11], v[48:49]
	v_mul_f64_e32 v[48:49], v[2:3], v[50:51]
	s_delay_alu instid0(VALU_DEP_1) | instskip(NEXT) | instid1(VALU_DEP_1)
	v_fmac_f64_e32 v[48:49], v[6:7], v[46:47]
	v_mul_f64_e32 v[46:47], v[48:49], v[14:15]
	s_delay_alu instid0(VALU_DEP_1)
	v_mul_f64_e32 v[48:49], v[46:47], v[0:1]
	s_clause 0x1
	global_store_b64 v58, v[46:47], s[14:15] scale_offset
	global_store_b64 v58, v[48:49], s[16:17] scale_offset
	;; [unrolled: 1-line block ×4, first 2 shown]
	s_cbranch_scc0 .LBB3_33
.LBB3_34:                               ;   in Loop: Header=BB3_9 Depth=3
	s_and_b32 vcc_lo, exec_lo, s37
	s_cbranch_vccz .LBB3_8
; %bb.35:                               ;   in Loop: Header=BB3_9 Depth=3
	v_mul_lo_u32 v10, s39, v35
	v_mul_lo_u32 v7, v36, s34
	v_lshl_add_u64 v[8:9], v[8:9], 3, s[12:13]
	s_mov_b32 s4, 0
	s_delay_alu instid0(VALU_DEP_3) | instskip(NEXT) | instid1(VALU_DEP_1)
	v_dual_mov_b32 v16, v30 :: v_dual_ashrrev_i32 v11, 31, v10
	v_lshl_add_u64 v[10:11], v[10:11], 3, s[14:15]
	s_branch .LBB3_37
.LBB3_36:                               ;   in Loop: Header=BB3_37 Depth=4
	v_dual_add_nc_u32 v14, s4, v7 :: v_dual_add_nc_u32 v16, 1, v16
	s_add_co_i32 s4, s4, 1
	s_delay_alu instid0(SALU_CYCLE_1) | instskip(NEXT) | instid1(VALU_DEP_1)
	s_cmp_lg_u32 s4, s34
	v_ashrrev_i32_e32 v15, 31, v14
	s_delay_alu instid0(VALU_DEP_1)
	v_lshl_add_u64 v[14:15], v[14:15], 3, v[8:9]
	s_wait_xcnt 0x0
	global_atomic_add_f64 v[14:15], v[12:13], off scope:SCOPE_DEV
	s_cbranch_scc0 .LBB3_40
.LBB3_37:                               ;   Parent Loop BB3_3 Depth=1
                                        ;     Parent Loop BB3_6 Depth=2
                                        ;       Parent Loop BB3_9 Depth=3
                                        ; =>      This Loop Header: Depth=4
                                        ;           Child Loop BB3_39 Depth 5
	s_wait_xcnt 0x0
	v_mov_b64_e32 v[12:13], 0
	s_and_not1_b32 vcc_lo, exec_lo, s36
	s_cbranch_vccnz .LBB3_36
; %bb.38:                               ;   in Loop: Header=BB3_37 Depth=4
	v_mov_b64_e32 v[14:15], v[10:11]
	v_mov_b32_e32 v17, v16
	s_mov_b32 s7, s35
.LBB3_39:                               ;   Parent Loop BB3_3 Depth=1
                                        ;     Parent Loop BB3_6 Depth=2
                                        ;       Parent Loop BB3_9 Depth=3
                                        ;         Parent Loop BB3_37 Depth=4
                                        ; =>        This Inner Loop Header: Depth=5
	global_load_b64 v[18:19], v17, s[8:9] scale_offset
	global_load_b64 v[20:21], v[14:15], off
	s_wait_xcnt 0x0
	v_add_nc_u64_e32 v[14:15], 8, v[14:15]
	v_add_nc_u32_e32 v17, 4, v17
	s_add_co_i32 s7, s7, -1
	s_delay_alu instid0(SALU_CYCLE_1)
	s_cmp_lg_u32 s7, 0
	s_wait_loadcnt 0x0
	v_fmac_f64_e32 v[12:13], v[18:19], v[20:21]
	s_cbranch_scc1 .LBB3_39
	s_branch .LBB3_36
.LBB3_40:                               ;   in Loop: Header=BB3_9 Depth=3
	v_mad_u32 v10, s35, v34, s35
	v_mov_b32_e32 v16, v30
	s_mov_b32 s4, 0
	s_delay_alu instid0(VALU_DEP_2) | instskip(NEXT) | instid1(VALU_DEP_1)
	v_dual_add_nc_u32 v7, s34, v7 :: v_dual_ashrrev_i32 v11, 31, v10
	v_lshl_add_u64 v[10:11], v[10:11], 3, s[14:15]
	s_branch .LBB3_42
.LBB3_41:                               ;   in Loop: Header=BB3_42 Depth=4
	v_dual_add_nc_u32 v14, s4, v7 :: v_dual_add_nc_u32 v16, 1, v16
	s_add_co_i32 s4, s4, 1
	s_delay_alu instid0(SALU_CYCLE_1) | instskip(NEXT) | instid1(VALU_DEP_1)
	s_cmp_lg_u32 s4, s34
	v_ashrrev_i32_e32 v15, 31, v14
	s_delay_alu instid0(VALU_DEP_1)
	v_lshl_add_u64 v[14:15], v[14:15], 3, v[8:9]
	global_atomic_add_f64 v[14:15], v[12:13], off scope:SCOPE_DEV
	s_cbranch_scc0 .LBB3_45
.LBB3_42:                               ;   Parent Loop BB3_3 Depth=1
                                        ;     Parent Loop BB3_6 Depth=2
                                        ;       Parent Loop BB3_9 Depth=3
                                        ; =>      This Loop Header: Depth=4
                                        ;           Child Loop BB3_44 Depth 5
	s_wait_xcnt 0x0
	v_mov_b64_e32 v[12:13], 0
	s_and_not1_b32 vcc_lo, exec_lo, s36
	s_cbranch_vccnz .LBB3_41
; %bb.43:                               ;   in Loop: Header=BB3_42 Depth=4
	v_mov_b64_e32 v[14:15], v[10:11]
	v_mov_b32_e32 v17, v16
	s_mov_b32 s7, s35
.LBB3_44:                               ;   Parent Loop BB3_3 Depth=1
                                        ;     Parent Loop BB3_6 Depth=2
                                        ;       Parent Loop BB3_9 Depth=3
                                        ;         Parent Loop BB3_42 Depth=4
                                        ; =>        This Inner Loop Header: Depth=5
	global_load_b64 v[18:19], v17, s[8:9] scale_offset
	global_load_b64 v[20:21], v[14:15], off
	s_wait_xcnt 0x0
	v_add_nc_u64_e32 v[14:15], 8, v[14:15]
	v_add_nc_u32_e32 v17, 4, v17
	s_add_co_i32 s7, s7, -1
	s_delay_alu instid0(SALU_CYCLE_1)
	s_cmp_lg_u32 s7, 0
	s_wait_loadcnt 0x0
	v_fmac_f64_e32 v[12:13], v[18:19], v[20:21]
	s_cbranch_scc1 .LBB3_44
	s_branch .LBB3_41
.LBB3_45:                               ;   in Loop: Header=BB3_9 Depth=3
	v_dual_add_nc_u32 v10, 2, v34 :: v_dual_add_nc_u32 v7, s34, v7
	s_mov_b32 s4, 0
	v_mov_b32_e32 v16, v30
	s_delay_alu instid0(VALU_DEP_2) | instskip(NEXT) | instid1(VALU_DEP_1)
	v_mul_lo_u32 v10, s35, v10
	v_ashrrev_i32_e32 v11, 31, v10
	s_delay_alu instid0(VALU_DEP_1)
	v_lshl_add_u64 v[10:11], v[10:11], 3, s[14:15]
	s_branch .LBB3_47
.LBB3_46:                               ;   in Loop: Header=BB3_47 Depth=4
	v_dual_add_nc_u32 v14, s4, v7 :: v_dual_add_nc_u32 v16, 1, v16
	s_add_co_i32 s4, s4, 1
	s_delay_alu instid0(SALU_CYCLE_1) | instskip(NEXT) | instid1(VALU_DEP_1)
	s_cmp_lg_u32 s4, s34
	v_ashrrev_i32_e32 v15, 31, v14
	s_delay_alu instid0(VALU_DEP_1)
	v_lshl_add_u64 v[14:15], v[14:15], 3, v[8:9]
	global_atomic_add_f64 v[14:15], v[12:13], off scope:SCOPE_DEV
	s_cbranch_scc0 .LBB3_50
.LBB3_47:                               ;   Parent Loop BB3_3 Depth=1
                                        ;     Parent Loop BB3_6 Depth=2
                                        ;       Parent Loop BB3_9 Depth=3
                                        ; =>      This Loop Header: Depth=4
                                        ;           Child Loop BB3_49 Depth 5
	s_wait_xcnt 0x0
	v_mov_b64_e32 v[12:13], 0
	s_and_not1_b32 vcc_lo, exec_lo, s36
	s_cbranch_vccnz .LBB3_46
; %bb.48:                               ;   in Loop: Header=BB3_47 Depth=4
	v_mov_b64_e32 v[14:15], v[10:11]
	v_mov_b32_e32 v17, v16
	s_mov_b32 s7, s35
.LBB3_49:                               ;   Parent Loop BB3_3 Depth=1
                                        ;     Parent Loop BB3_6 Depth=2
                                        ;       Parent Loop BB3_9 Depth=3
                                        ;         Parent Loop BB3_47 Depth=4
                                        ; =>        This Inner Loop Header: Depth=5
	global_load_b64 v[18:19], v17, s[8:9] scale_offset
	global_load_b64 v[20:21], v[14:15], off
	s_wait_xcnt 0x0
	v_add_nc_u64_e32 v[14:15], 8, v[14:15]
	v_add_nc_u32_e32 v17, 4, v17
	s_add_co_i32 s7, s7, -1
	s_delay_alu instid0(SALU_CYCLE_1)
	s_cmp_lg_u32 s7, 0
	s_wait_loadcnt 0x0
	v_fmac_f64_e32 v[12:13], v[18:19], v[20:21]
	s_cbranch_scc1 .LBB3_49
	s_branch .LBB3_46
.LBB3_50:                               ;   in Loop: Header=BB3_9 Depth=3
	v_dual_add_nc_u32 v10, 3, v34 :: v_dual_add_nc_u32 v7, s34, v7
	s_mov_b32 s4, 0
	v_mov_b32_e32 v16, v30
	s_delay_alu instid0(VALU_DEP_2) | instskip(NEXT) | instid1(VALU_DEP_1)
	v_mul_lo_u32 v10, s35, v10
	v_ashrrev_i32_e32 v11, 31, v10
	s_delay_alu instid0(VALU_DEP_1)
	v_lshl_add_u64 v[10:11], v[10:11], 3, s[14:15]
	s_branch .LBB3_52
.LBB3_51:                               ;   in Loop: Header=BB3_52 Depth=4
	v_dual_add_nc_u32 v14, s4, v7 :: v_dual_add_nc_u32 v16, 1, v16
	s_add_co_i32 s4, s4, 1
	s_delay_alu instid0(SALU_CYCLE_1) | instskip(NEXT) | instid1(VALU_DEP_1)
	s_cmp_lg_u32 s4, s34
	v_ashrrev_i32_e32 v15, 31, v14
	s_delay_alu instid0(VALU_DEP_1)
	v_lshl_add_u64 v[14:15], v[14:15], 3, v[8:9]
	global_atomic_add_f64 v[14:15], v[12:13], off scope:SCOPE_DEV
	s_cbranch_scc0 .LBB3_8
.LBB3_52:                               ;   Parent Loop BB3_3 Depth=1
                                        ;     Parent Loop BB3_6 Depth=2
                                        ;       Parent Loop BB3_9 Depth=3
                                        ; =>      This Loop Header: Depth=4
                                        ;           Child Loop BB3_54 Depth 5
	s_wait_xcnt 0x0
	v_mov_b64_e32 v[12:13], 0
	s_and_not1_b32 vcc_lo, exec_lo, s36
	s_cbranch_vccnz .LBB3_51
; %bb.53:                               ;   in Loop: Header=BB3_52 Depth=4
	v_mov_b64_e32 v[14:15], v[10:11]
	v_mov_b32_e32 v17, v16
	s_mov_b32 s7, s35
.LBB3_54:                               ;   Parent Loop BB3_3 Depth=1
                                        ;     Parent Loop BB3_6 Depth=2
                                        ;       Parent Loop BB3_9 Depth=3
                                        ;         Parent Loop BB3_52 Depth=4
                                        ; =>        This Inner Loop Header: Depth=5
	global_load_b64 v[18:19], v17, s[8:9] scale_offset
	global_load_b64 v[20:21], v[14:15], off
	s_wait_xcnt 0x0
	v_add_nc_u64_e32 v[14:15], 8, v[14:15]
	v_add_nc_u32_e32 v17, 4, v17
	s_add_co_i32 s7, s7, -1
	s_delay_alu instid0(SALU_CYCLE_1)
	s_cmp_lg_u32 s7, 0
	s_wait_loadcnt 0x0
	v_fmac_f64_e32 v[12:13], v[18:19], v[20:21]
	s_cbranch_scc1 .LBB3_54
	s_branch .LBB3_51
.LBB3_55:
	s_endpgm
	.section	.rodata,"a",@progbits
	.p2align	6, 0x0
	.amdhsa_kernel _Z10wavefrontsiiiii10Dimensions11StepInfoAllPdS1_S1_S1_S1_S1_S1_S1_
		.amdhsa_group_segment_fixed_size 0
		.amdhsa_private_segment_fixed_size 0
		.amdhsa_kernarg_size 464
		.amdhsa_user_sgpr_count 2
		.amdhsa_user_sgpr_dispatch_ptr 0
		.amdhsa_user_sgpr_queue_ptr 0
		.amdhsa_user_sgpr_kernarg_segment_ptr 1
		.amdhsa_user_sgpr_dispatch_id 0
		.amdhsa_user_sgpr_kernarg_preload_length 0
		.amdhsa_user_sgpr_kernarg_preload_offset 0
		.amdhsa_user_sgpr_private_segment_size 0
		.amdhsa_wavefront_size32 1
		.amdhsa_uses_dynamic_stack 0
		.amdhsa_enable_private_segment 0
		.amdhsa_system_sgpr_workgroup_id_x 1
		.amdhsa_system_sgpr_workgroup_id_y 1
		.amdhsa_system_sgpr_workgroup_id_z 0
		.amdhsa_system_sgpr_workgroup_info 0
		.amdhsa_system_vgpr_workitem_id 1
		.amdhsa_next_free_vgpr 59
		.amdhsa_next_free_sgpr 46
		.amdhsa_named_barrier_count 0
		.amdhsa_reserve_vcc 1
		.amdhsa_float_round_mode_32 0
		.amdhsa_float_round_mode_16_64 0
		.amdhsa_float_denorm_mode_32 3
		.amdhsa_float_denorm_mode_16_64 3
		.amdhsa_fp16_overflow 0
		.amdhsa_memory_ordered 1
		.amdhsa_forward_progress 1
		.amdhsa_inst_pref_size 29
		.amdhsa_round_robin_scheduling 0
		.amdhsa_exception_fp_ieee_invalid_op 0
		.amdhsa_exception_fp_denorm_src 0
		.amdhsa_exception_fp_ieee_div_zero 0
		.amdhsa_exception_fp_ieee_overflow 0
		.amdhsa_exception_fp_ieee_underflow 0
		.amdhsa_exception_fp_ieee_inexact 0
		.amdhsa_exception_int_div_zero 0
	.end_amdhsa_kernel
	.text
.Lfunc_end3:
	.size	_Z10wavefrontsiiiii10Dimensions11StepInfoAllPdS1_S1_S1_S1_S1_S1_S1_, .Lfunc_end3-_Z10wavefrontsiiiii10Dimensions11StepInfoAllPdS1_S1_S1_S1_S1_S1_S1_
                                        ; -- End function
	.set _Z10wavefrontsiiiii10Dimensions11StepInfoAllPdS1_S1_S1_S1_S1_S1_S1_.num_vgpr, 59
	.set _Z10wavefrontsiiiii10Dimensions11StepInfoAllPdS1_S1_S1_S1_S1_S1_S1_.num_agpr, 0
	.set _Z10wavefrontsiiiii10Dimensions11StepInfoAllPdS1_S1_S1_S1_S1_S1_S1_.numbered_sgpr, 46
	.set _Z10wavefrontsiiiii10Dimensions11StepInfoAllPdS1_S1_S1_S1_S1_S1_S1_.num_named_barrier, 0
	.set _Z10wavefrontsiiiii10Dimensions11StepInfoAllPdS1_S1_S1_S1_S1_S1_S1_.private_seg_size, 0
	.set _Z10wavefrontsiiiii10Dimensions11StepInfoAllPdS1_S1_S1_S1_S1_S1_S1_.uses_vcc, 1
	.set _Z10wavefrontsiiiii10Dimensions11StepInfoAllPdS1_S1_S1_S1_S1_S1_S1_.uses_flat_scratch, 0
	.set _Z10wavefrontsiiiii10Dimensions11StepInfoAllPdS1_S1_S1_S1_S1_S1_S1_.has_dyn_sized_stack, 0
	.set _Z10wavefrontsiiiii10Dimensions11StepInfoAllPdS1_S1_S1_S1_S1_S1_S1_.has_recursion, 0
	.set _Z10wavefrontsiiiii10Dimensions11StepInfoAllPdS1_S1_S1_S1_S1_S1_S1_.has_indirect_call, 0
	.section	.AMDGPU.csdata,"",@progbits
; Kernel info:
; codeLenInByte = 3712
; TotalNumSgprs: 48
; NumVgprs: 59
; ScratchSize: 0
; MemoryBound: 0
; FloatMode: 240
; IeeeMode: 1
; LDSByteSize: 0 bytes/workgroup (compile time only)
; SGPRBlocks: 0
; VGPRBlocks: 3
; NumSGPRsForWavesPerEU: 48
; NumVGPRsForWavesPerEU: 59
; NamedBarCnt: 0
; Occupancy: 16
; WaveLimiterHint : 0
; COMPUTE_PGM_RSRC2:SCRATCH_EN: 0
; COMPUTE_PGM_RSRC2:USER_SGPR: 2
; COMPUTE_PGM_RSRC2:TRAP_HANDLER: 0
; COMPUTE_PGM_RSRC2:TGID_X_EN: 1
; COMPUTE_PGM_RSRC2:TGID_Y_EN: 1
; COMPUTE_PGM_RSRC2:TGID_Z_EN: 0
; COMPUTE_PGM_RSRC2:TIDIG_COMP_CNT: 1
	.text
	.p2alignl 7, 3214868480
	.fill 96, 4, 3214868480
	.section	.AMDGPU.gpr_maximums,"",@progbits
	.set amdgpu.max_num_vgpr, 0
	.set amdgpu.max_num_agpr, 0
	.set amdgpu.max_num_sgpr, 0
	.text
	.type	__hip_cuid_162bb05a69900178,@object ; @__hip_cuid_162bb05a69900178
	.section	.bss,"aw",@nobits
	.globl	__hip_cuid_162bb05a69900178
__hip_cuid_162bb05a69900178:
	.byte	0                               ; 0x0
	.size	__hip_cuid_162bb05a69900178, 1

	.ident	"AMD clang version 22.0.0git (https://github.com/RadeonOpenCompute/llvm-project roc-7.2.4 26084 f58b06dce1f9c15707c5f808fd002e18c2accf7e)"
	.section	".note.GNU-stack","",@progbits
	.addrsig
	.addrsig_sym __hip_cuid_162bb05a69900178
	.amdgpu_metadata
---
amdhsa.kernels:
  - .args:
      - .offset:         0
        .size:           4
        .value_kind:     by_value
      - .offset:         4
        .size:           4
        .value_kind:     by_value
      - .offset:         8
        .size:           4
        .value_kind:     by_value
      - .offset:         12
        .size:           4
        .value_kind:     by_value
      - .offset:         16
        .size:           4
        .value_kind:     by_value
      - .offset:         20
        .size:           4
        .value_kind:     by_value
      - .offset:         24
        .size:           4
        .value_kind:     by_value
      - .offset:         28
        .size:           4
        .value_kind:     by_value
      - .address_space:  global
        .offset:         32
        .size:           8
        .value_kind:     global_buffer
      - .offset:         40
        .size:           4
        .value_kind:     hidden_block_count_x
      - .offset:         44
        .size:           4
        .value_kind:     hidden_block_count_y
      - .offset:         48
        .size:           4
        .value_kind:     hidden_block_count_z
      - .offset:         52
        .size:           2
        .value_kind:     hidden_group_size_x
      - .offset:         54
        .size:           2
        .value_kind:     hidden_group_size_y
      - .offset:         56
        .size:           2
        .value_kind:     hidden_group_size_z
      - .offset:         58
        .size:           2
        .value_kind:     hidden_remainder_x
      - .offset:         60
        .size:           2
        .value_kind:     hidden_remainder_y
      - .offset:         62
        .size:           2
        .value_kind:     hidden_remainder_z
      - .offset:         80
        .size:           8
        .value_kind:     hidden_global_offset_x
      - .offset:         88
        .size:           8
        .value_kind:     hidden_global_offset_y
      - .offset:         96
        .size:           8
        .value_kind:     hidden_global_offset_z
      - .offset:         104
        .size:           2
        .value_kind:     hidden_grid_dims
    .group_segment_fixed_size: 0
    .kernarg_segment_align: 8
    .kernarg_segment_size: 296
    .language:       OpenCL C
    .language_version:
      - 2
      - 0
    .max_flat_workgroup_size: 1024
    .name:           _Z11init_facexyiiiiiiiiPd
    .private_segment_fixed_size: 0
    .sgpr_count:     18
    .sgpr_spill_count: 0
    .symbol:         _Z11init_facexyiiiiiiiiPd.kd
    .uniform_work_group_size: 1
    .uses_dynamic_stack: false
    .vgpr_count:     20
    .vgpr_spill_count: 0
    .wavefront_size: 32
  - .args:
      - .offset:         0
        .size:           4
        .value_kind:     by_value
      - .offset:         4
        .size:           4
        .value_kind:     by_value
      - .offset:         8
        .size:           4
        .value_kind:     by_value
      - .offset:         12
        .size:           4
        .value_kind:     by_value
      - .offset:         16
        .size:           4
        .value_kind:     by_value
      - .offset:         20
        .size:           4
        .value_kind:     by_value
      - .offset:         24
        .size:           4
        .value_kind:     by_value
      - .offset:         28
        .size:           4
        .value_kind:     by_value
      - .offset:         32
        .size:           4
        .value_kind:     by_value
      - .offset:         36
        .size:           96
        .value_kind:     by_value
      - .address_space:  global
        .offset:         136
        .size:           8
        .value_kind:     global_buffer
      - .offset:         144
        .size:           4
        .value_kind:     hidden_block_count_x
      - .offset:         148
        .size:           4
        .value_kind:     hidden_block_count_y
      - .offset:         152
        .size:           4
        .value_kind:     hidden_block_count_z
      - .offset:         156
        .size:           2
        .value_kind:     hidden_group_size_x
      - .offset:         158
        .size:           2
        .value_kind:     hidden_group_size_y
      - .offset:         160
        .size:           2
        .value_kind:     hidden_group_size_z
      - .offset:         162
        .size:           2
        .value_kind:     hidden_remainder_x
      - .offset:         164
        .size:           2
        .value_kind:     hidden_remainder_y
      - .offset:         166
        .size:           2
        .value_kind:     hidden_remainder_z
      - .offset:         184
        .size:           8
        .value_kind:     hidden_global_offset_x
      - .offset:         192
        .size:           8
        .value_kind:     hidden_global_offset_y
      - .offset:         200
        .size:           8
        .value_kind:     hidden_global_offset_z
      - .offset:         208
        .size:           2
        .value_kind:     hidden_grid_dims
    .group_segment_fixed_size: 0
    .kernarg_segment_align: 8
    .kernarg_segment_size: 400
    .language:       OpenCL C
    .language_version:
      - 2
      - 0
    .max_flat_workgroup_size: 1024
    .name:           _Z11init_facexziiiiiiiii11StepInfoAllPd
    .private_segment_fixed_size: 0
    .sgpr_count:     22
    .sgpr_spill_count: 0
    .symbol:         _Z11init_facexziiiiiiiii11StepInfoAllPd.kd
    .uniform_work_group_size: 1
    .uses_dynamic_stack: false
    .vgpr_count:     18
    .vgpr_spill_count: 0
    .wavefront_size: 32
  - .args:
      - .offset:         0
        .size:           4
        .value_kind:     by_value
      - .offset:         4
        .size:           4
        .value_kind:     by_value
      - .offset:         8
        .size:           4
        .value_kind:     by_value
      - .offset:         12
        .size:           4
        .value_kind:     by_value
      - .offset:         16
        .size:           4
        .value_kind:     by_value
      - .offset:         20
        .size:           4
        .value_kind:     by_value
      - .offset:         24
        .size:           4
        .value_kind:     by_value
      - .offset:         28
        .size:           4
        .value_kind:     by_value
      - .offset:         32
        .size:           4
        .value_kind:     by_value
      - .offset:         36
        .size:           96
        .value_kind:     by_value
      - .address_space:  global
        .offset:         136
        .size:           8
        .value_kind:     global_buffer
      - .offset:         144
        .size:           4
        .value_kind:     hidden_block_count_x
      - .offset:         148
        .size:           4
        .value_kind:     hidden_block_count_y
      - .offset:         152
        .size:           4
        .value_kind:     hidden_block_count_z
      - .offset:         156
        .size:           2
        .value_kind:     hidden_group_size_x
      - .offset:         158
        .size:           2
        .value_kind:     hidden_group_size_y
      - .offset:         160
        .size:           2
        .value_kind:     hidden_group_size_z
      - .offset:         162
        .size:           2
        .value_kind:     hidden_remainder_x
      - .offset:         164
        .size:           2
        .value_kind:     hidden_remainder_y
      - .offset:         166
        .size:           2
        .value_kind:     hidden_remainder_z
      - .offset:         184
        .size:           8
        .value_kind:     hidden_global_offset_x
      - .offset:         192
        .size:           8
        .value_kind:     hidden_global_offset_y
      - .offset:         200
        .size:           8
        .value_kind:     hidden_global_offset_z
      - .offset:         208
        .size:           2
        .value_kind:     hidden_grid_dims
    .group_segment_fixed_size: 0
    .kernarg_segment_align: 8
    .kernarg_segment_size: 400
    .language:       OpenCL C
    .language_version:
      - 2
      - 0
    .max_flat_workgroup_size: 1024
    .name:           _Z11init_faceyziiiiiiiii11StepInfoAllPd
    .private_segment_fixed_size: 0
    .sgpr_count:     22
    .sgpr_spill_count: 0
    .symbol:         _Z11init_faceyziiiiiiiii11StepInfoAllPd.kd
    .uniform_work_group_size: 1
    .uses_dynamic_stack: false
    .vgpr_count:     18
    .vgpr_spill_count: 0
    .wavefront_size: 32
  - .args:
      - .offset:         0
        .size:           4
        .value_kind:     by_value
      - .offset:         4
        .size:           4
        .value_kind:     by_value
      - .offset:         8
        .size:           4
        .value_kind:     by_value
      - .offset:         12
        .size:           4
        .value_kind:     by_value
      - .offset:         16
        .size:           4
        .value_kind:     by_value
      - .offset:         20
        .size:           24
        .value_kind:     by_value
      - .offset:         44
        .size:           96
        .value_kind:     by_value
      - .address_space:  global
        .offset:         144
        .size:           8
        .value_kind:     global_buffer
      - .address_space:  global
        .offset:         152
        .size:           8
        .value_kind:     global_buffer
      - .address_space:  global
        .offset:         160
        .size:           8
        .value_kind:     global_buffer
      - .actual_access:  read_only
        .address_space:  global
        .offset:         168
        .size:           8
        .value_kind:     global_buffer
      - .actual_access:  read_only
        .address_space:  global
        .offset:         176
        .size:           8
        .value_kind:     global_buffer
      - .actual_access:  read_only
        .address_space:  global
        .offset:         184
        .size:           8
        .value_kind:     global_buffer
      - .address_space:  global
        .offset:         192
        .size:           8
        .value_kind:     global_buffer
      - .address_space:  global
        .offset:         200
        .size:           8
        .value_kind:     global_buffer
      - .offset:         208
        .size:           4
        .value_kind:     hidden_block_count_x
      - .offset:         212
        .size:           4
        .value_kind:     hidden_block_count_y
      - .offset:         216
        .size:           4
        .value_kind:     hidden_block_count_z
      - .offset:         220
        .size:           2
        .value_kind:     hidden_group_size_x
      - .offset:         222
        .size:           2
        .value_kind:     hidden_group_size_y
      - .offset:         224
        .size:           2
        .value_kind:     hidden_group_size_z
      - .offset:         226
        .size:           2
        .value_kind:     hidden_remainder_x
      - .offset:         228
        .size:           2
        .value_kind:     hidden_remainder_y
      - .offset:         230
        .size:           2
        .value_kind:     hidden_remainder_z
      - .offset:         248
        .size:           8
        .value_kind:     hidden_global_offset_x
      - .offset:         256
        .size:           8
        .value_kind:     hidden_global_offset_y
      - .offset:         264
        .size:           8
        .value_kind:     hidden_global_offset_z
      - .offset:         272
        .size:           2
        .value_kind:     hidden_grid_dims
    .group_segment_fixed_size: 0
    .kernarg_segment_align: 8
    .kernarg_segment_size: 464
    .language:       OpenCL C
    .language_version:
      - 2
      - 0
    .max_flat_workgroup_size: 1024
    .name:           _Z10wavefrontsiiiii10Dimensions11StepInfoAllPdS1_S1_S1_S1_S1_S1_S1_
    .private_segment_fixed_size: 0
    .sgpr_count:     48
    .sgpr_spill_count: 0
    .symbol:         _Z10wavefrontsiiiii10Dimensions11StepInfoAllPdS1_S1_S1_S1_S1_S1_S1_.kd
    .uniform_work_group_size: 1
    .uses_dynamic_stack: false
    .vgpr_count:     59
    .vgpr_spill_count: 0
    .wavefront_size: 32
amdhsa.target:   amdgcn-amd-amdhsa--gfx1250
amdhsa.version:
  - 1
  - 2
...

	.end_amdgpu_metadata
